;; amdgpu-corpus repo=ROCm/rocFFT kind=compiled arch=gfx950 opt=O3
	.text
	.amdgcn_target "amdgcn-amd-amdhsa--gfx950"
	.amdhsa_code_object_version 6
	.protected	fft_rtc_back_len1530_factors_17_3_6_5_wgs_102_tpt_102_halfLds_dp_op_CI_CI_unitstride_sbrr_dirReg ; -- Begin function fft_rtc_back_len1530_factors_17_3_6_5_wgs_102_tpt_102_halfLds_dp_op_CI_CI_unitstride_sbrr_dirReg
	.globl	fft_rtc_back_len1530_factors_17_3_6_5_wgs_102_tpt_102_halfLds_dp_op_CI_CI_unitstride_sbrr_dirReg
	.p2align	8
	.type	fft_rtc_back_len1530_factors_17_3_6_5_wgs_102_tpt_102_halfLds_dp_op_CI_CI_unitstride_sbrr_dirReg,@function
fft_rtc_back_len1530_factors_17_3_6_5_wgs_102_tpt_102_halfLds_dp_op_CI_CI_unitstride_sbrr_dirReg: ; @fft_rtc_back_len1530_factors_17_3_6_5_wgs_102_tpt_102_halfLds_dp_op_CI_CI_unitstride_sbrr_dirReg
; %bb.0:
	s_load_dwordx4 s[4:7], s[0:1], 0x58
	s_load_dwordx4 s[8:11], s[0:1], 0x0
	;; [unrolled: 1-line block ×3, first 2 shown]
	v_mul_u32_u24_e32 v1, 0x283, v0
	v_add_u32_sdwa v6, s2, v1 dst_sel:DWORD dst_unused:UNUSED_PAD src0_sel:DWORD src1_sel:WORD_1
	v_mov_b32_e32 v4, 0
	s_waitcnt lgkmcnt(0)
	v_cmp_lt_u64_e64 s[2:3], s[10:11], 2
	v_mov_b32_e32 v7, v4
	s_and_b64 vcc, exec, s[2:3]
	v_mov_b64_e32 v[2:3], 0
	s_cbranch_vccnz .LBB0_8
; %bb.1:
	s_load_dwordx2 s[2:3], s[0:1], 0x10
	s_add_u32 s16, s14, 8
	s_addc_u32 s17, s15, 0
	s_add_u32 s18, s12, 8
	s_addc_u32 s19, s13, 0
	s_waitcnt lgkmcnt(0)
	s_add_u32 s20, s2, 8
	v_mov_b64_e32 v[2:3], 0
	s_addc_u32 s21, s3, 0
	s_mov_b64 s[22:23], 1
	v_mov_b64_e32 v[98:99], v[2:3]
.LBB0_2:                                ; =>This Inner Loop Header: Depth=1
	s_load_dwordx2 s[24:25], s[20:21], 0x0
                                        ; implicit-def: $vgpr102_vgpr103
	s_waitcnt lgkmcnt(0)
	v_or_b32_e32 v5, s25, v7
	v_cmp_ne_u64_e32 vcc, 0, v[4:5]
	s_and_saveexec_b64 s[2:3], vcc
	s_xor_b64 s[26:27], exec, s[2:3]
	s_cbranch_execz .LBB0_4
; %bb.3:                                ;   in Loop: Header=BB0_2 Depth=1
	v_cvt_f32_u32_e32 v1, s24
	v_cvt_f32_u32_e32 v5, s25
	s_sub_u32 s2, 0, s24
	s_subb_u32 s3, 0, s25
	v_fmac_f32_e32 v1, 0x4f800000, v5
	v_rcp_f32_e32 v1, v1
	s_nop 0
	v_mul_f32_e32 v1, 0x5f7ffffc, v1
	v_mul_f32_e32 v5, 0x2f800000, v1
	v_trunc_f32_e32 v5, v5
	v_fmac_f32_e32 v1, 0xcf800000, v5
	v_cvt_u32_f32_e32 v5, v5
	v_cvt_u32_f32_e32 v1, v1
	v_mul_lo_u32 v8, s2, v5
	v_mul_hi_u32 v10, s2, v1
	v_mul_lo_u32 v9, s3, v1
	v_add_u32_e32 v10, v10, v8
	v_mul_lo_u32 v12, s2, v1
	v_add_u32_e32 v13, v10, v9
	v_mul_hi_u32 v8, v1, v12
	v_mul_hi_u32 v11, v1, v13
	v_mul_lo_u32 v10, v1, v13
	v_mov_b32_e32 v9, v4
	v_lshl_add_u64 v[8:9], v[8:9], 0, v[10:11]
	v_mul_hi_u32 v11, v5, v12
	v_mul_lo_u32 v12, v5, v12
	v_add_co_u32_e32 v8, vcc, v8, v12
	v_mul_hi_u32 v10, v5, v13
	s_nop 0
	v_addc_co_u32_e32 v8, vcc, v9, v11, vcc
	v_mov_b32_e32 v9, v4
	s_nop 0
	v_addc_co_u32_e32 v11, vcc, 0, v10, vcc
	v_mul_lo_u32 v10, v5, v13
	v_lshl_add_u64 v[8:9], v[8:9], 0, v[10:11]
	v_add_co_u32_e32 v1, vcc, v1, v8
	v_mul_lo_u32 v10, s2, v1
	s_nop 0
	v_addc_co_u32_e32 v5, vcc, v5, v9, vcc
	v_mul_lo_u32 v8, s2, v5
	v_mul_hi_u32 v9, s2, v1
	v_add_u32_e32 v8, v9, v8
	v_mul_lo_u32 v9, s3, v1
	v_add_u32_e32 v12, v8, v9
	v_mul_hi_u32 v14, v5, v10
	v_mul_lo_u32 v15, v5, v10
	v_mul_hi_u32 v9, v1, v12
	v_mul_lo_u32 v8, v1, v12
	v_mul_hi_u32 v10, v1, v10
	v_mov_b32_e32 v11, v4
	v_lshl_add_u64 v[8:9], v[10:11], 0, v[8:9]
	v_add_co_u32_e32 v8, vcc, v8, v15
	v_mul_hi_u32 v13, v5, v12
	s_nop 0
	v_addc_co_u32_e32 v8, vcc, v9, v14, vcc
	v_mul_lo_u32 v10, v5, v12
	s_nop 0
	v_addc_co_u32_e32 v11, vcc, 0, v13, vcc
	v_mov_b32_e32 v9, v4
	v_lshl_add_u64 v[8:9], v[8:9], 0, v[10:11]
	v_add_co_u32_e32 v1, vcc, v1, v8
	v_mul_hi_u32 v10, v6, v1
	s_nop 0
	v_addc_co_u32_e32 v5, vcc, v5, v9, vcc
	v_mad_u64_u32 v[8:9], s[2:3], v6, v5, 0
	v_mov_b32_e32 v11, v4
	v_lshl_add_u64 v[8:9], v[10:11], 0, v[8:9]
	v_mad_u64_u32 v[12:13], s[2:3], v7, v1, 0
	v_add_co_u32_e32 v1, vcc, v8, v12
	v_mad_u64_u32 v[10:11], s[2:3], v7, v5, 0
	s_nop 0
	v_addc_co_u32_e32 v8, vcc, v9, v13, vcc
	v_mov_b32_e32 v9, v4
	s_nop 0
	v_addc_co_u32_e32 v11, vcc, 0, v11, vcc
	v_lshl_add_u64 v[8:9], v[8:9], 0, v[10:11]
	v_mul_lo_u32 v1, s25, v8
	v_mul_lo_u32 v5, s24, v9
	v_mad_u64_u32 v[10:11], s[2:3], s24, v8, 0
	v_add3_u32 v1, v11, v5, v1
	v_sub_u32_e32 v5, v7, v1
	v_mov_b32_e32 v11, s25
	v_sub_co_u32_e32 v14, vcc, v6, v10
	v_lshl_add_u64 v[12:13], v[8:9], 0, 1
	s_nop 0
	v_subb_co_u32_e64 v5, s[2:3], v5, v11, vcc
	v_subrev_co_u32_e64 v10, s[2:3], s24, v14
	v_subb_co_u32_e32 v1, vcc, v7, v1, vcc
	s_nop 0
	v_subbrev_co_u32_e64 v5, s[2:3], 0, v5, s[2:3]
	v_cmp_le_u32_e64 s[2:3], s25, v5
	v_cmp_le_u32_e32 vcc, s25, v1
	s_nop 0
	v_cndmask_b32_e64 v11, 0, -1, s[2:3]
	v_cmp_le_u32_e64 s[2:3], s24, v10
	s_nop 1
	v_cndmask_b32_e64 v10, 0, -1, s[2:3]
	v_cmp_eq_u32_e64 s[2:3], s25, v5
	s_nop 1
	v_cndmask_b32_e64 v5, v11, v10, s[2:3]
	v_lshl_add_u64 v[10:11], v[8:9], 0, 2
	v_cmp_ne_u32_e64 s[2:3], 0, v5
	s_nop 1
	v_cndmask_b32_e64 v5, v13, v11, s[2:3]
	v_cndmask_b32_e64 v11, 0, -1, vcc
	v_cmp_le_u32_e32 vcc, s24, v14
	s_nop 1
	v_cndmask_b32_e64 v13, 0, -1, vcc
	v_cmp_eq_u32_e32 vcc, s25, v1
	s_nop 1
	v_cndmask_b32_e32 v1, v11, v13, vcc
	v_cmp_ne_u32_e32 vcc, 0, v1
	v_cndmask_b32_e64 v1, v12, v10, s[2:3]
	s_nop 0
	v_cndmask_b32_e32 v103, v9, v5, vcc
	v_cndmask_b32_e32 v102, v8, v1, vcc
.LBB0_4:                                ;   in Loop: Header=BB0_2 Depth=1
	s_andn2_saveexec_b64 s[2:3], s[26:27]
	s_cbranch_execz .LBB0_6
; %bb.5:                                ;   in Loop: Header=BB0_2 Depth=1
	v_cvt_f32_u32_e32 v1, s24
	s_sub_i32 s26, 0, s24
	v_mov_b32_e32 v103, v4
	v_rcp_iflag_f32_e32 v1, v1
	s_nop 0
	v_mul_f32_e32 v1, 0x4f7ffffe, v1
	v_cvt_u32_f32_e32 v1, v1
	v_mul_lo_u32 v5, s26, v1
	v_mul_hi_u32 v5, v1, v5
	v_add_u32_e32 v1, v1, v5
	v_mul_hi_u32 v1, v6, v1
	v_mul_lo_u32 v5, v1, s24
	v_sub_u32_e32 v5, v6, v5
	v_add_u32_e32 v8, 1, v1
	v_subrev_u32_e32 v9, s24, v5
	v_cmp_le_u32_e32 vcc, s24, v5
	s_nop 1
	v_cndmask_b32_e32 v5, v5, v9, vcc
	v_cndmask_b32_e32 v1, v1, v8, vcc
	v_add_u32_e32 v8, 1, v1
	v_cmp_le_u32_e32 vcc, s24, v5
	s_nop 1
	v_cndmask_b32_e32 v102, v1, v8, vcc
.LBB0_6:                                ;   in Loop: Header=BB0_2 Depth=1
	s_or_b64 exec, exec, s[2:3]
	v_mad_u64_u32 v[8:9], s[2:3], v102, s24, 0
	s_load_dwordx2 s[2:3], s[18:19], 0x0
	v_mul_lo_u32 v1, v103, s24
	v_mul_lo_u32 v5, v102, s25
	s_load_dwordx2 s[24:25], s[16:17], 0x0
	s_add_u32 s22, s22, 1
	v_add3_u32 v1, v9, v5, v1
	v_sub_co_u32_e32 v5, vcc, v6, v8
	s_addc_u32 s23, s23, 0
	s_nop 0
	v_subb_co_u32_e32 v1, vcc, v7, v1, vcc
	s_add_u32 s16, s16, 8
	s_waitcnt lgkmcnt(0)
	v_mul_lo_u32 v6, s2, v1
	v_mul_lo_u32 v7, s3, v5
	v_mad_u64_u32 v[2:3], s[2:3], s2, v5, v[2:3]
	s_addc_u32 s17, s17, 0
	v_add3_u32 v3, v7, v3, v6
	v_mul_lo_u32 v1, s24, v1
	v_mul_lo_u32 v6, s25, v5
	v_mad_u64_u32 v[98:99], s[2:3], s24, v5, v[98:99]
	s_add_u32 s18, s18, 8
	v_add3_u32 v99, v6, v99, v1
	s_addc_u32 s19, s19, 0
	v_mov_b64_e32 v[6:7], s[10:11]
	s_add_u32 s20, s20, 8
	v_cmp_ge_u64_e32 vcc, s[22:23], v[6:7]
	s_addc_u32 s21, s21, 0
	s_cbranch_vccnz .LBB0_9
; %bb.7:                                ;   in Loop: Header=BB0_2 Depth=1
	v_mov_b64_e32 v[6:7], v[102:103]
	s_branch .LBB0_2
.LBB0_8:
	v_mov_b64_e32 v[98:99], v[2:3]
	v_mov_b64_e32 v[102:103], v[6:7]
.LBB0_9:
	s_load_dwordx2 s[0:1], s[0:1], 0x28
	s_mov_b32 s16, 0x2828283
	v_mul_hi_u32 v1, v0, s16
	v_mul_u32_u24_e32 v1, 0x66, v1
	s_lshl_b64 s[2:3], s[10:11], 3
	s_waitcnt lgkmcnt(0)
	v_cmp_gt_u64_e32 vcc, s[0:1], v[102:103]
	v_sub_u32_e32 v100, v0, v1
	s_movk_i32 s0, 0x5a
	s_add_u32 s10, s14, s2
	v_cmp_gt_u32_e64 s[0:1], s0, v100
	s_addc_u32 s11, s15, s3
	s_and_b64 s[16:17], vcc, s[0:1]
                                        ; implicit-def: $vgpr76_vgpr77
                                        ; implicit-def: $vgpr64_vgpr65
                                        ; implicit-def: $vgpr60_vgpr61
                                        ; implicit-def: $vgpr68_vgpr69
                                        ; implicit-def: $vgpr72_vgpr73
                                        ; implicit-def: $vgpr56_vgpr57
                                        ; implicit-def: $vgpr52_vgpr53
                                        ; implicit-def: $vgpr48_vgpr49
                                        ; implicit-def: $vgpr44_vgpr45
                                        ; implicit-def: $vgpr40_vgpr41
                                        ; implicit-def: $vgpr36_vgpr37
                                        ; implicit-def: $vgpr32_vgpr33
                                        ; implicit-def: $vgpr28_vgpr29
                                        ; implicit-def: $vgpr24_vgpr25
                                        ; implicit-def: $vgpr20_vgpr21
                                        ; implicit-def: $vgpr16_vgpr17
                                        ; implicit-def: $vgpr12_vgpr13
	s_and_saveexec_b64 s[14:15], s[16:17]
	s_cbranch_execz .LBB0_11
; %bb.10:
	s_add_u32 s2, s12, s2
	s_addc_u32 s3, s13, s3
	s_load_dwordx2 s[2:3], s[2:3], 0x0
	v_mov_b32_e32 v101, 0
	s_waitcnt lgkmcnt(0)
	v_mul_lo_u32 v4, s3, v102
	v_mul_lo_u32 v5, s2, v103
	v_mad_u64_u32 v[0:1], s[2:3], s2, v102, 0
	v_add3_u32 v1, v1, v5, v4
	v_lshl_add_u64 v[0:1], v[0:1], 4, s[4:5]
	v_lshl_add_u64 v[0:1], v[2:3], 4, v[0:1]
	;; [unrolled: 1-line block ×3, first 2 shown]
	s_movk_i32 s2, 0x1000
	v_add_co_u32_e64 v2, s[2:3], s2, v0
	global_load_dwordx4 v[10:13], v[0:1], off
	global_load_dwordx4 v[14:17], v[0:1], off offset:1440
	v_addc_co_u32_e64 v3, s[2:3], 0, v1, s[2:3]
	s_movk_i32 s2, 0x2000
	global_load_dwordx4 v[18:21], v[0:1], off offset:2880
	global_load_dwordx4 v[22:25], v[2:3], off offset:224
	;; [unrolled: 1-line block ×4, first 2 shown]
	v_add_co_u32_e64 v2, s[2:3], s2, v0
	s_nop 1
	v_addc_co_u32_e64 v3, s[2:3], 0, v1, s[2:3]
	s_movk_i32 s2, 0x3000
	s_nop 0
	v_add_co_u32_e64 v4, s[2:3], s2, v0
	global_load_dwordx4 v[34:37], v[2:3], off offset:448
	global_load_dwordx4 v[38:41], v[2:3], off offset:1888
	v_addc_co_u32_e64 v5, s[2:3], 0, v1, s[2:3]
	s_movk_i32 s2, 0x4000
	global_load_dwordx4 v[42:45], v[2:3], off offset:3328
	global_load_dwordx4 v[46:49], v[4:5], off offset:672
	;; [unrolled: 1-line block ×4, first 2 shown]
	v_add_co_u32_e64 v2, s[2:3], s2, v0
	s_nop 1
	v_addc_co_u32_e64 v3, s[2:3], 0, v1, s[2:3]
	s_movk_i32 s2, 0x5000
	s_nop 0
	v_add_co_u32_e64 v0, s[2:3], s2, v0
	s_nop 1
	v_addc_co_u32_e64 v1, s[2:3], 0, v1, s[2:3]
	global_load_dwordx4 v[70:73], v[2:3], off offset:896
	global_load_dwordx4 v[66:69], v[2:3], off offset:2336
	;; [unrolled: 1-line block ×5, first 2 shown]
.LBB0_11:
	s_or_b64 exec, exec, s[14:15]
	s_mov_b32 s22, 0x5d8e7cdc
	s_waitcnt vmcnt(0)
	v_add_f64 v[84:85], v[16:17], -v[76:77]
	s_mov_b32 s2, 0x370991
	s_mov_b32 s23, 0xbfd71e95
	;; [unrolled: 1-line block ×3, first 2 shown]
	v_add_f64 v[78:79], v[74:75], v[14:15]
	s_mov_b32 s3, 0x3fedd6d0
	v_mul_f64 v[4:5], v[84:85], s[22:23]
	s_mov_b32 s4, 0x75d4884
	s_mov_b32 s27, 0xbfe58eea
	v_add_f64 v[94:95], v[20:21], -v[64:65]
	v_fma_f64 v[0:1], v[78:79], s[2:3], -v[4:5]
	s_mov_b32 s5, 0x3fe7a5f6
	v_add_f64 v[86:87], v[62:63], v[18:19]
	v_mul_f64 v[6:7], v[94:95], s[26:27]
	s_mov_b32 s28, 0xeb564b22
	v_add_f64 v[0:1], v[10:11], v[0:1]
	v_fma_f64 v[2:3], v[86:87], s[4:5], -v[6:7]
	v_mul_f64 v[8:9], v[84:85], s[26:27]
	s_mov_b32 s12, 0x3259b75e
	s_mov_b32 s29, 0xbfefdd0d
	v_add_f64 v[0:1], v[2:3], v[0:1]
	v_fma_f64 v[2:3], v[78:79], s[4:5], -v[8:9]
	s_mov_b32 s13, 0x3fb79ee6
	v_mul_f64 v[80:81], v[94:95], s[28:29]
	s_mov_b32 s36, 0x7c9e640b
	v_add_f64 v[2:3], v[10:11], v[2:3]
	v_fma_f64 v[82:83], v[86:87], s[12:13], -v[80:81]
	s_mov_b32 s14, 0x2b2883cd
	s_mov_b32 s37, 0xbfeca52d
	v_add_f64 v[108:109], v[24:25], -v[60:61]
	s_mov_b32 s30, 0x6c9a05f6
	v_add_f64 v[2:3], v[82:83], v[2:3]
	s_mov_b32 s15, 0x3fdc86fa
	v_add_f64 v[90:91], v[58:59], v[22:23]
	v_mul_f64 v[82:83], v[108:109], s[36:37]
	s_mov_b32 s16, 0x6ed5f1bb
	s_mov_b32 s31, 0xbfe9895b
	v_fma_f64 v[88:89], v[90:91], s[14:15], -v[82:83]
	s_mov_b32 s17, 0xbfe348c8
	v_mul_f64 v[92:93], v[108:109], s[30:31]
	v_add_f64 v[0:1], v[88:89], v[0:1]
	v_fma_f64 v[88:89], v[90:91], s[16:17], -v[92:93]
	v_add_f64 v[120:121], v[28:29], -v[68:69]
	v_add_f64 v[2:3], v[88:89], v[2:3]
	v_add_f64 v[96:97], v[66:67], v[26:27]
	v_mul_f64 v[88:89], v[120:121], s[28:29]
	s_mov_b32 s34, 0xacd6c6b4
	v_fma_f64 v[104:105], v[96:97], s[12:13], -v[88:89]
	s_mov_b32 s18, 0x7faef3
	s_mov_b32 s35, 0xbfc7851a
	v_add_f64 v[0:1], v[104:105], v[0:1]
	s_mov_b32 s19, 0xbfef7484
	v_mul_f64 v[104:105], v[120:121], s[34:35]
	s_mov_b32 s38, 0x923c349f
	v_fma_f64 v[106:107], v[96:97], s[18:19], -v[104:105]
	s_mov_b32 s20, 0xc61f0d01
	s_mov_b32 s39, 0xbfeec746
	v_add_f64 v[130:131], v[32:33], -v[72:73]
	s_mov_b32 s40, 0x4363dd80
	v_add_f64 v[2:3], v[106:107], v[2:3]
	s_mov_b32 s21, 0xbfd183b1
	v_add_f64 v[110:111], v[70:71], v[30:31]
	v_mul_f64 v[106:107], v[130:131], s[38:39]
	s_mov_b32 s24, 0x910ea3b9
	s_mov_b32 s41, 0x3fe0d888
	v_fma_f64 v[112:113], v[110:111], s[20:21], -v[106:107]
	s_mov_b32 s25, 0xbfeb34fa
	v_mul_f64 v[118:119], v[130:131], s[40:41]
	v_add_f64 v[0:1], v[112:113], v[0:1]
	v_fma_f64 v[112:113], v[110:111], s[24:25], -v[118:119]
	v_add_f64 v[138:139], v[36:37], -v[56:57]
	v_add_f64 v[2:3], v[112:113], v[2:3]
	v_add_f64 v[114:115], v[54:55], v[34:35]
	v_mul_f64 v[112:113], v[138:139], s[30:31]
	s_mov_b32 s43, 0x3feec746
	s_mov_b32 s42, s38
	v_fma_f64 v[116:117], v[114:115], s[16:17], -v[112:113]
	v_mul_f64 v[122:123], v[138:139], s[42:43]
	v_add_f64 v[0:1], v[116:117], v[0:1]
	v_fma_f64 v[116:117], v[114:115], s[20:21], -v[122:123]
	s_mov_b32 s45, 0xbfe0d888
	s_mov_b32 s44, s40
	v_add_f64 v[142:143], v[40:41], -v[52:53]
	v_add_f64 v[2:3], v[116:117], v[2:3]
	v_add_f64 v[124:125], v[50:51], v[38:39]
	v_mul_f64 v[116:117], v[142:143], s[44:45]
	s_mov_b32 s47, 0x3feca52d
	s_mov_b32 s46, s36
	v_fma_f64 v[126:127], v[124:125], s[24:25], -v[116:117]
	v_mul_f64 v[132:133], v[142:143], s[46:47]
	s_mov_b32 s49, 0x3fd71e95
	s_mov_b32 s48, s22
	v_add_f64 v[144:145], v[44:45], -v[48:49]
	v_add_f64 v[128:129], v[126:127], v[0:1]
	v_fma_f64 v[0:1], v[124:125], s[14:15], -v[132:133]
	v_add_f64 v[134:135], v[46:47], v[42:43]
	v_mul_f64 v[136:137], v[144:145], s[48:49]
	v_add_f64 v[0:1], v[0:1], v[2:3]
	v_fma_f64 v[2:3], v[134:135], s[2:3], -v[136:137]
	v_mul_f64 v[126:127], v[144:145], s[34:35]
	v_add_f64 v[0:1], v[2:3], v[0:1]
	v_fma_f64 v[2:3], v[134:135], s[18:19], -v[126:127]
	v_add_f64 v[2:3], v[2:3], v[128:129]
	s_and_saveexec_b64 s[50:51], s[0:1]
	s_cbranch_execz .LBB0_13
; %bb.12:
	v_mul_f64 v[154:155], v[78:79], s[18:19]
	s_mov_b32 s53, 0x3fc7851a
	s_mov_b32 s52, s34
	v_mul_f64 v[152:153], v[86:87], s[2:3]
	v_fma_f64 v[156:157], s[52:53], v[84:85], v[154:155]
	v_mul_f64 v[150:151], v[90:91], s[24:25]
	v_fma_f64 v[128:129], s[22:23], v[94:95], v[152:153]
	v_add_f64 v[156:157], v[10:11], v[156:157]
	v_fmac_f64_e32 v[154:155], s[34:35], v[84:85]
	v_mul_f64 v[148:149], v[96:97], s[4:5]
	v_add_f64 v[128:129], v[128:129], v[156:157]
	v_fma_f64 v[156:157], s[40:41], v[108:109], v[150:151]
	v_fmac_f64_e32 v[152:153], s[48:49], v[94:95]
	v_add_f64 v[154:155], v[10:11], v[154:155]
	v_mul_f64 v[146:147], v[110:111], s[16:17]
	s_mov_b32 s55, 0x3fe9895b
	s_mov_b32 s54, s30
	v_add_f64 v[128:129], v[156:157], v[128:129]
	v_fma_f64 v[156:157], s[26:27], v[120:121], v[148:149]
	v_add_f64 v[152:153], v[152:153], v[154:155]
	s_mov_b32 s57, 0x3fe58eea
	s_mov_b32 s56, s26
	v_fmac_f64_e32 v[150:151], s[44:45], v[108:109]
	v_mul_f64 v[140:141], v[114:115], s[14:15]
	v_add_f64 v[128:129], v[156:157], v[128:129]
	v_fma_f64 v[156:157], s[54:55], v[130:131], v[146:147]
	v_fmac_f64_e32 v[148:149], s[56:57], v[120:121]
	v_add_f64 v[150:151], v[150:151], v[152:153]
	v_add_f64 v[128:129], v[156:157], v[128:129]
	v_fma_f64 v[156:157], s[36:37], v[138:139], v[140:141]
	v_fmac_f64_e32 v[146:147], s[30:31], v[130:131]
	v_add_f64 v[148:149], v[148:149], v[150:151]
	v_add_f64 v[128:129], v[156:157], v[128:129]
	v_mul_f64 v[156:157], v[124:125], s[20:21]
	v_fmac_f64_e32 v[140:141], s[46:47], v[138:139]
	v_add_f64 v[146:147], v[146:147], v[148:149]
	v_fma_f64 v[158:159], s[42:43], v[142:143], v[156:157]
	v_fmac_f64_e32 v[156:157], s[38:39], v[142:143]
	v_add_f64 v[140:141], v[140:141], v[146:147]
	v_mul_f64 v[154:155], v[78:79], s[24:25]
	v_add_f64 v[140:141], v[156:157], v[140:141]
	v_mul_f64 v[152:153], v[86:87], s[14:15]
	v_fma_f64 v[156:157], s[40:41], v[84:85], v[154:155]
	s_mov_b32 s59, 0x3fefdd0d
	s_mov_b32 s58, s28
	v_mul_f64 v[150:151], v[90:91], s[12:13]
	v_fma_f64 v[146:147], s[36:37], v[94:95], v[152:153]
	v_add_f64 v[156:157], v[10:11], v[156:157]
	v_fmac_f64_e32 v[154:155], s[44:45], v[84:85]
	v_mul_f64 v[148:149], v[96:97], s[16:17]
	v_add_f64 v[146:147], v[146:147], v[156:157]
	v_fma_f64 v[156:157], s[58:59], v[108:109], v[150:151]
	v_fmac_f64_e32 v[152:153], s[46:47], v[94:95]
	v_add_f64 v[154:155], v[10:11], v[154:155]
	v_add_f64 v[128:129], v[158:159], v[128:129]
	v_mul_f64 v[158:159], v[134:135], s[12:13]
	v_add_f64 v[146:147], v[156:157], v[146:147]
	v_fma_f64 v[156:157], s[30:31], v[120:121], v[148:149]
	v_add_f64 v[152:153], v[152:153], v[154:155]
	v_fmac_f64_e32 v[150:151], s[28:29], v[108:109]
	v_fma_f64 v[160:161], s[28:29], v[144:145], v[158:159]
	v_fmac_f64_e32 v[158:159], s[58:59], v[144:145]
	v_add_f64 v[146:147], v[156:157], v[146:147]
	v_mul_f64 v[156:157], v[110:111], s[2:3]
	v_add_f64 v[150:151], v[150:151], v[152:153]
	v_fmac_f64_e32 v[148:149], s[54:55], v[120:121]
	v_add_f64 v[140:141], v[158:159], v[140:141]
	v_fma_f64 v[158:159], s[48:49], v[130:131], v[156:157]
	v_add_f64 v[148:149], v[148:149], v[150:151]
	v_fmac_f64_e32 v[156:157], s[22:23], v[130:131]
	v_mul_f64 v[154:155], v[78:79], s[16:17]
	v_add_f64 v[148:149], v[156:157], v[148:149]
	v_mul_f64 v[152:153], v[86:87], s[20:21]
	v_fma_f64 v[156:157], s[54:55], v[84:85], v[154:155]
	v_add_f64 v[146:147], v[158:159], v[146:147]
	v_mul_f64 v[158:159], v[114:115], s[18:19]
	v_fma_f64 v[150:151], s[38:39], v[94:95], v[152:153]
	v_add_f64 v[156:157], v[10:11], v[156:157]
	v_add_f64 v[128:129], v[160:161], v[128:129]
	v_fma_f64 v[160:161], s[52:53], v[138:139], v[158:159]
	v_fmac_f64_e32 v[158:159], s[34:35], v[138:139]
	v_add_f64 v[150:151], v[150:151], v[156:157]
	v_mul_f64 v[156:157], v[90:91], s[2:3]
	v_add_f64 v[146:147], v[160:161], v[146:147]
	v_mul_f64 v[160:161], v[124:125], s[4:5]
	v_add_f64 v[148:149], v[158:159], v[148:149]
	v_fma_f64 v[158:159], s[48:49], v[108:109], v[156:157]
	v_fmac_f64_e32 v[154:155], s[30:31], v[84:85]
	v_fma_f64 v[162:163], s[26:27], v[142:143], v[160:161]
	v_fmac_f64_e32 v[160:161], s[56:57], v[142:143]
	v_add_f64 v[150:151], v[158:159], v[150:151]
	v_mul_f64 v[158:159], v[96:97], s[24:25]
	v_fmac_f64_e32 v[152:153], s[42:43], v[94:95]
	v_add_f64 v[154:155], v[10:11], v[154:155]
	v_add_f64 v[146:147], v[162:163], v[146:147]
	v_mul_f64 v[162:163], v[134:135], s[20:21]
	v_add_f64 v[148:149], v[160:161], v[148:149]
	v_fma_f64 v[160:161], s[40:41], v[120:121], v[158:159]
	v_add_f64 v[152:153], v[152:153], v[154:155]
	v_fmac_f64_e32 v[156:157], s[22:23], v[108:109]
	v_fma_f64 v[164:165], s[42:43], v[144:145], v[162:163]
	v_fmac_f64_e32 v[162:163], s[38:39], v[144:145]
	v_add_f64 v[150:151], v[160:161], v[150:151]
	v_mul_f64 v[160:161], v[110:111], s[12:13]
	v_add_f64 v[152:153], v[156:157], v[152:153]
	v_fmac_f64_e32 v[158:159], s[44:45], v[120:121]
	v_mul_f64 v[156:157], v[78:79], s[20:21]
	v_add_f64 v[148:149], v[162:163], v[148:149]
	v_fma_f64 v[162:163], s[28:29], v[130:131], v[160:161]
	v_add_f64 v[152:153], v[158:159], v[152:153]
	v_fmac_f64_e32 v[160:161], s[58:59], v[130:131]
	v_fma_f64 v[154:155], s[42:43], v[84:85], v[156:157]
	v_mul_f64 v[158:159], v[86:87], s[24:25]
	v_add_f64 v[150:151], v[162:163], v[150:151]
	v_mul_f64 v[162:163], v[114:115], s[4:5]
	v_add_f64 v[152:153], v[160:161], v[152:153]
	v_add_f64 v[154:155], v[10:11], v[154:155]
	v_fma_f64 v[160:161], s[44:45], v[94:95], v[158:159]
	v_add_f64 v[146:147], v[164:165], v[146:147]
	v_fma_f64 v[164:165], s[56:57], v[138:139], v[162:163]
	v_fmac_f64_e32 v[162:163], s[26:27], v[138:139]
	v_add_f64 v[154:155], v[160:161], v[154:155]
	v_mul_f64 v[160:161], v[90:91], s[4:5]
	v_add_f64 v[150:151], v[164:165], v[150:151]
	v_mul_f64 v[164:165], v[124:125], s[18:19]
	v_add_f64 v[152:153], v[162:163], v[152:153]
	v_fma_f64 v[162:163], s[26:27], v[108:109], v[160:161]
	v_fmac_f64_e32 v[156:157], s[38:39], v[84:85]
	v_fma_f64 v[166:167], s[52:53], v[142:143], v[164:165]
	v_fmac_f64_e32 v[164:165], s[34:35], v[142:143]
	v_add_f64 v[154:155], v[162:163], v[154:155]
	v_mul_f64 v[162:163], v[96:97], s[14:15]
	v_fmac_f64_e32 v[158:159], s[40:41], v[94:95]
	v_add_f64 v[156:157], v[10:11], v[156:157]
	v_add_f64 v[150:151], v[166:167], v[150:151]
	v_mul_f64 v[166:167], v[134:135], s[14:15]
	v_add_f64 v[152:153], v[164:165], v[152:153]
	v_fma_f64 v[164:165], s[46:47], v[120:121], v[162:163]
	v_add_f64 v[156:157], v[158:159], v[156:157]
	v_fmac_f64_e32 v[160:161], s[56:57], v[108:109]
	v_fma_f64 v[168:169], s[36:37], v[144:145], v[166:167]
	v_fmac_f64_e32 v[166:167], s[46:47], v[144:145]
	v_add_f64 v[154:155], v[164:165], v[154:155]
	v_mul_f64 v[164:165], v[110:111], s[18:19]
	v_add_f64 v[156:157], v[160:161], v[156:157]
	v_fmac_f64_e32 v[162:163], s[36:37], v[120:121]
	v_mul_f64 v[158:159], v[78:79], s[12:13]
	v_add_f64 v[152:153], v[166:167], v[152:153]
	v_fma_f64 v[166:167], s[52:53], v[130:131], v[164:165]
	v_add_f64 v[156:157], v[162:163], v[156:157]
	v_fmac_f64_e32 v[164:165], s[34:35], v[130:131]
	v_fma_f64 v[160:161], s[58:59], v[84:85], v[158:159]
	v_mul_f64 v[162:163], v[86:87], s[18:19]
	v_add_f64 v[154:155], v[166:167], v[154:155]
	v_mul_f64 v[166:167], v[114:115], s[12:13]
	v_add_f64 v[156:157], v[164:165], v[156:157]
	v_add_f64 v[160:161], v[10:11], v[160:161]
	v_fma_f64 v[164:165], s[52:53], v[94:95], v[162:163]
	;; [unrolled: 40-line block ×3, first 2 shown]
	v_add_f64 v[154:155], v[172:173], v[154:155]
	v_fma_f64 v[172:173], s[40:41], v[138:139], v[170:171]
	v_fmac_f64_e32 v[170:171], s[44:45], v[138:139]
	v_add_f64 v[164:165], v[168:169], v[164:165]
	v_mul_f64 v[168:169], v[90:91], s[18:19]
	v_fmac_f64_e32 v[166:167], s[30:31], v[94:95]
	v_mul_f64 v[94:95], v[78:79], s[2:3]
	v_add_f64 v[158:159], v[170:171], v[158:159]
	v_fma_f64 v[170:171], s[34:35], v[108:109], v[168:169]
	v_fmac_f64_e32 v[168:169], s[52:53], v[108:109]
	v_mul_f64 v[108:109], v[86:87], s[4:5]
	v_add_f64 v[4:5], v[4:5], v[94:95]
	v_add_f64 v[6:7], v[6:7], v[108:109]
	;; [unrolled: 1-line block ×6, first 2 shown]
	v_mul_f64 v[172:173], v[124:125], s[16:17]
	v_add_f64 v[6:7], v[18:19], v[6:7]
	v_fma_f64 v[174:175], s[30:31], v[142:143], v[172:173]
	v_fmac_f64_e32 v[172:173], s[54:55], v[142:143]
	v_add_f64 v[164:165], v[170:171], v[164:165]
	v_mul_f64 v[170:171], v[96:97], s[20:21]
	v_add_f64 v[6:7], v[22:23], v[6:7]
	v_add_f64 v[160:161], v[174:175], v[160:161]
	v_mul_f64 v[174:175], v[134:135], s[4:5]
	v_add_f64 v[158:159], v[172:173], v[158:159]
	v_fma_f64 v[172:173], s[38:39], v[120:121], v[170:171]
	v_add_f64 v[6:7], v[26:27], v[6:7]
	v_fma_f64 v[176:177], s[26:27], v[144:145], v[174:175]
	v_fmac_f64_e32 v[174:175], s[56:57], v[144:145]
	v_add_f64 v[164:165], v[172:173], v[164:165]
	v_mul_f64 v[172:173], v[110:111], s[4:5]
	v_add_f64 v[6:7], v[30:31], v[6:7]
	v_add_f64 v[158:159], v[174:175], v[158:159]
	v_fma_f64 v[174:175], s[26:27], v[130:131], v[172:173]
	v_fmac_f64_e32 v[172:173], s[56:57], v[130:131]
	v_mul_f64 v[130:131], v[134:135], s[2:3]
	v_add_f64 v[6:7], v[34:35], v[6:7]
	v_add_f64 v[130:131], v[136:137], v[130:131]
	v_mul_f64 v[136:137], v[124:125], s[14:15]
	v_add_f64 v[6:7], v[38:39], v[6:7]
	v_mul_f64 v[78:79], v[78:79], s[4:5]
	v_add_f64 v[132:133], v[132:133], v[136:137]
	v_mul_f64 v[136:137], v[114:115], s[20:21]
	v_add_f64 v[6:7], v[42:43], v[6:7]
	v_fmac_f64_e32 v[170:171], s[42:43], v[120:121]
	v_fmac_f64_e32 v[162:163], s[36:37], v[84:85]
	v_mul_f64 v[86:87], v[86:87], s[12:13]
	v_mul_f64 v[120:121], v[90:91], s[14:15]
	v_add_f64 v[122:123], v[122:123], v[136:137]
	v_mul_f64 v[136:137], v[110:111], s[24:25]
	v_add_f64 v[8:9], v[8:9], v[78:79]
	v_add_f64 v[6:7], v[46:47], v[6:7]
	;; [unrolled: 1-line block ×3, first 2 shown]
	v_mul_f64 v[174:175], v[114:115], s[2:3]
	v_add_f64 v[84:85], v[10:11], v[162:163]
	v_mul_f64 v[90:91], v[90:91], s[16:17]
	v_add_f64 v[118:119], v[118:119], v[136:137]
	;; [unrolled: 2-line block ×3, first 2 shown]
	v_add_f64 v[8:9], v[10:11], v[8:9]
	v_add_f64 v[82:83], v[82:83], v[120:121]
	;; [unrolled: 1-line block ×4, first 2 shown]
	v_fma_f64 v[176:177], s[48:49], v[138:139], v[174:175]
	v_add_f64 v[84:85], v[166:167], v[84:85]
	v_mul_f64 v[96:97], v[96:97], s[18:19]
	v_mul_f64 v[110:111], v[110:111], s[20:21]
	v_add_f64 v[90:91], v[92:93], v[90:91]
	v_add_f64 v[8:9], v[80:81], v[8:9]
	v_add_f64 v[88:89], v[88:89], v[136:137]
	v_add_f64 v[4:5], v[82:83], v[4:5]
	v_add_f64 v[6:7], v[54:55], v[6:7]
	v_add_f64 v[164:165], v[176:177], v[164:165]
	v_mul_f64 v[176:177], v[124:125], s[12:13]
	v_add_f64 v[84:85], v[168:169], v[84:85]
	v_mul_f64 v[114:115], v[114:115], s[16:17]
	v_add_f64 v[96:97], v[104:105], v[96:97]
	v_add_f64 v[8:9], v[90:91], v[8:9]
	;; [unrolled: 1-line block ×5, first 2 shown]
	v_fma_f64 v[178:179], s[58:59], v[142:143], v[176:177]
	v_add_f64 v[84:85], v[170:171], v[84:85]
	v_mul_f64 v[124:125], v[124:125], s[24:25]
	v_add_f64 v[8:9], v[96:97], v[8:9]
	v_add_f64 v[86:87], v[112:113], v[114:115]
	;; [unrolled: 1-line block ×5, first 2 shown]
	v_mul_f64 v[178:179], v[134:135], s[24:25]
	v_fmac_f64_e32 v[174:175], s[22:23], v[138:139]
	v_add_f64 v[84:85], v[172:173], v[84:85]
	v_mul_f64 v[134:135], v[134:135], s[18:19]
	v_add_f64 v[8:9], v[118:119], v[8:9]
	v_add_f64 v[80:81], v[116:117], v[124:125]
	v_add_f64 v[4:5], v[86:87], v[4:5]
	v_add_f64 v[6:7], v[58:59], v[6:7]
	v_fmac_f64_e32 v[176:177], s[28:29], v[142:143]
	v_add_f64 v[84:85], v[174:175], v[84:85]
	v_add_f64 v[8:9], v[122:123], v[8:9]
	;; [unrolled: 1-line block ×5, first 2 shown]
	s_movk_i32 s33, 0x88
	v_fma_f64 v[180:181], s[40:41], v[144:145], v[178:179]
	v_fmac_f64_e32 v[178:179], s[44:45], v[144:145]
	v_add_f64 v[84:85], v[176:177], v[84:85]
	v_add_f64 v[8:9], v[132:133], v[8:9]
	;; [unrolled: 1-line block ×4, first 2 shown]
	v_mad_u32_u24 v10, v100, s33, 0
	v_add_f64 v[164:165], v[180:181], v[164:165]
	v_add_f64 v[84:85], v[178:179], v[84:85]
	;; [unrolled: 1-line block ×3, first 2 shown]
	ds_write2_b64 v10, v[6:7], v[4:5] offset1:1
	ds_write2_b64 v10, v[8:9], v[84:85] offset0:2 offset1:3
	ds_write2_b64 v10, v[158:159], v[156:157] offset0:4 offset1:5
	;; [unrolled: 1-line block ×7, first 2 shown]
	ds_write_b64 v10, v[2:3] offset:128
.LBB0_13:
	s_or_b64 exec, exec, s[50:51]
	v_add_f64 v[152:153], v[14:15], -v[74:75]
	v_add_f64 v[146:147], v[76:77], v[16:17]
	v_mul_f64 v[154:155], v[152:153], s[22:23]
	v_add_f64 v[144:145], v[18:19], -v[62:63]
	v_fma_f64 v[4:5], s[2:3], v[146:147], v[154:155]
	v_mul_f64 v[156:157], v[152:153], s[26:27]
	v_add_f64 v[138:139], v[64:65], v[20:21]
	v_mul_f64 v[148:149], v[144:145], s[26:27]
	v_add_f64 v[4:5], v[12:13], v[4:5]
	v_fma_f64 v[6:7], s[4:5], v[146:147], v[156:157]
	v_fma_f64 v[8:9], s[4:5], v[138:139], v[148:149]
	v_mul_f64 v[150:151], v[144:145], s[28:29]
	v_add_f64 v[128:129], v[22:23], -v[58:59]
	v_add_f64 v[6:7], v[12:13], v[6:7]
	v_add_f64 v[4:5], v[8:9], v[4:5]
	v_fma_f64 v[8:9], s[12:13], v[138:139], v[150:151]
	v_add_f64 v[122:123], v[60:61], v[24:25]
	v_mul_f64 v[140:141], v[128:129], s[36:37]
	v_add_f64 v[6:7], v[8:9], v[6:7]
	v_fma_f64 v[8:9], s[14:15], v[122:123], v[140:141]
	v_mul_f64 v[142:143], v[128:129], s[30:31]
	v_add_f64 v[116:117], v[26:27], -v[66:67]
	v_add_f64 v[4:5], v[8:9], v[4:5]
	v_fma_f64 v[8:9], s[16:17], v[122:123], v[142:143]
	v_add_f64 v[114:115], v[68:69], v[28:29]
	v_mul_f64 v[130:131], v[116:117], s[28:29]
	v_add_f64 v[6:7], v[8:9], v[6:7]
	v_fma_f64 v[8:9], s[12:13], v[114:115], v[130:131]
	v_mul_f64 v[132:133], v[116:117], s[34:35]
	v_add_f64 v[104:105], v[30:31], -v[70:71]
	;; [unrolled: 8-line block ×4, first 2 shown]
	v_add_f64 v[4:5], v[8:9], v[4:5]
	v_fma_f64 v[8:9], s[20:21], v[58:59], v[108:109]
	v_add_f64 v[34:35], v[52:53], v[40:41]
	v_mul_f64 v[50:51], v[38:39], s[44:45]
	v_add_f64 v[6:7], v[8:9], v[6:7]
	v_fma_f64 v[8:9], s[24:25], v[34:35], v[50:51]
	v_mul_f64 v[62:63], v[38:39], s[46:47]
	v_lshl_add_u32 v101, v100, 3, 0
	v_add_u32_e32 v166, 0x132, v100
	v_add_f64 v[4:5], v[8:9], v[4:5]
	v_fma_f64 v[8:9], s[14:15], v[34:35], v[62:63]
	v_add_u32_e32 v163, 0x800, v101
	v_add_u32_e32 v161, 0x1c00, v101
	;; [unrolled: 1-line block ×5, first 2 shown]
	v_lshl_add_u32 v158, v166, 3, 0
	v_add_u32_e32 v165, 0x1800, v101
	v_add_f64 v[66:67], v[8:9], v[6:7]
	s_waitcnt lgkmcnt(0)
	s_barrier
	ds_read2_b64 v[78:81], v101 offset1:102
	ds_read2_b64 v[8:11], v163 offset0:152 offset1:254
	ds_read2_b64 v[90:93], v161 offset0:124 offset1:226
	;; [unrolled: 1-line block ×3, first 2 shown]
	v_lshl_add_u32 v159, v160, 3, 0
	ds_read2_b64 v[94:97], v162 offset0:72 offset1:174
	ds_read_b64 v[18:19], v158
	ds_read2_b64 v[86:89], v165 offset0:48 offset1:150
	ds_read_b64 v[26:27], v159
	ds_read_b64 v[22:23], v101 offset:11424
	v_add_f64 v[30:31], v[42:43], -v[46:47]
	v_add_f64 v[14:15], v[48:49], v[44:45]
	v_mul_f64 v[46:47], v[30:31], s[34:35]
	v_fma_f64 v[6:7], s[18:19], v[14:15], v[46:47]
	v_mul_f64 v[42:43], v[30:31], s[48:49]
	v_add_f64 v[6:7], v[6:7], v[4:5]
	v_fma_f64 v[4:5], s[2:3], v[14:15], v[42:43]
	v_add_f64 v[4:5], v[4:5], v[66:67]
	s_waitcnt lgkmcnt(0)
	s_barrier
	s_and_saveexec_b64 s[22:23], s[0:1]
	s_cbranch_execz .LBB0_15
; %bb.14:
	v_add_f64 v[16:17], v[16:17], v[12:13]
	v_add_f64 v[16:17], v[20:21], v[16:17]
	;; [unrolled: 1-line block ×11, first 2 shown]
	v_mul_f64 v[170:171], v[146:147], s[4:5]
	v_mul_f64 v[172:173], v[138:139], s[4:5]
	v_mul_f64 v[176:177], v[122:123], s[14:15]
	v_mul_f64 v[182:183], v[114:115], s[18:19]
	v_mul_f64 v[136:137], v[74:75], s[20:21]
	v_mul_f64 v[124:125], v[58:59], s[20:21]
	v_mul_f64 v[110:111], v[34:35], s[14:15]
	v_mul_f64 v[70:71], v[14:15], s[18:19]
	v_add_f64 v[16:17], v[72:73], v[16:17]
	s_mov_b32 s34, 0x7c9e640b
	s_mov_b32 s18, 0xeb564b22
	;; [unrolled: 1-line block ×6, first 2 shown]
	v_mul_f64 v[168:169], v[146:147], s[2:3]
	v_mul_f64 v[174:175], v[138:139], s[12:13]
	;; [unrolled: 1-line block ×4, first 2 shown]
	v_add_f64 v[16:17], v[68:69], v[16:17]
	s_mov_b32 s35, 0xbfeca52d
	s_mov_b32 s2, 0x2b2883cd
	;; [unrolled: 1-line block ×10, first 2 shown]
	v_add_f64 v[16:17], v[60:61], v[16:17]
	v_mul_f64 v[28:29], v[152:153], s[34:35]
	s_mov_b32 s3, 0x3fdc86fa
	v_mul_f64 v[36:37], v[152:153], s[18:19]
	s_mov_b32 s1, 0x3fb79ee6
	;; [unrolled: 2-line block ×3, first 2 shown]
	v_mul_f64 v[52:53], v[152:153], s[14:15]
	v_mul_f64 v[60:61], v[152:153], s[20:21]
	v_mul_f64 v[68:69], v[152:153], s[28:29]
	s_mov_b32 s31, 0xbfef7484
	v_add_f64 v[16:17], v[64:65], v[16:17]
	v_add_f64 v[20:21], v[168:169], -v[154:155]
	v_add_f64 v[24:25], v[170:171], -v[156:157]
	v_fma_f64 v[32:33], v[146:147], s[2:3], -v[28:29]
	v_fmac_f64_e32 v[28:29], s[2:3], v[146:147]
	v_fma_f64 v[40:41], v[146:147], s[0:1], -v[36:37]
	v_fmac_f64_e32 v[36:37], s[0:1], v[146:147]
	;; [unrolled: 2-line block ×6, first 2 shown]
	v_add_f64 v[20:21], v[12:13], v[20:21]
	v_add_f64 v[24:25], v[12:13], v[24:25]
	;; [unrolled: 1-line block ×14, first 2 shown]
	v_add_f64 v[68:69], v[172:173], -v[148:149]
	v_add_f64 v[20:21], v[68:69], v[20:21]
	v_add_f64 v[68:69], v[174:175], -v[150:151]
	v_add_f64 v[24:25], v[68:69], v[24:25]
	v_mul_f64 v[68:69], v[144:145], s[14:15]
	v_add_f64 v[16:17], v[76:77], v[16:17]
	v_fma_f64 v[76:77], v[138:139], s[16:17], -v[68:69]
	v_fmac_f64_e32 v[68:69], s[16:17], v[138:139]
	v_add_f64 v[28:29], v[68:69], v[28:29]
	v_mul_f64 v[68:69], v[144:145], s[28:29]
	v_add_f64 v[32:33], v[76:77], v[32:33]
	v_fma_f64 v[76:77], v[138:139], s[30:31], -v[68:69]
	v_fmac_f64_e32 v[68:69], s[30:31], v[138:139]
	s_mov_b32 s27, 0x3fe0d888
	s_mov_b32 s26, s20
	v_add_f64 v[36:37], v[68:69], v[36:37]
	v_mul_f64 v[68:69], v[144:145], s[26:27]
	v_add_f64 v[40:41], v[76:77], v[40:41]
	v_fma_f64 v[76:77], v[138:139], s[24:25], -v[68:69]
	v_fmac_f64_e32 v[68:69], s[24:25], v[138:139]
	s_mov_b32 s45, 0x3feec746
	s_mov_b32 s44, s4
	;; [unrolled: 7-line block ×3, first 2 shown]
	v_add_f64 v[52:53], v[68:69], v[52:53]
	v_mul_f64 v[68:69], v[144:145], s[26:27]
	s_mov_b32 s46, 0x5d8e7cdc
	v_add_f64 v[56:57], v[76:77], v[56:57]
	v_fma_f64 v[76:77], v[138:139], s[2:3], -v[68:69]
	v_fmac_f64_e32 v[68:69], s[2:3], v[138:139]
	s_mov_b32 s47, 0x3fd71e95
	s_mov_b32 s40, 0x370991
	v_add_f64 v[60:61], v[68:69], v[60:61]
	v_mul_f64 v[68:69], v[144:145], s[46:47]
	s_mov_b32 s41, 0x3fedd6d0
	v_add_f64 v[64:65], v[76:77], v[64:65]
	v_fma_f64 v[76:77], v[138:139], s[40:41], -v[68:69]
	v_fmac_f64_e32 v[68:69], s[40:41], v[138:139]
	v_mul_f64 v[178:179], v[122:123], s[16:17]
	v_add_f64 v[12:13], v[68:69], v[12:13]
	v_add_f64 v[68:69], v[176:177], -v[140:141]
	v_add_f64 v[20:21], v[68:69], v[20:21]
	v_add_f64 v[68:69], v[178:179], -v[142:143]
	s_mov_b32 s37, 0x3fc7851a
	s_mov_b32 s36, s28
	v_add_f64 v[24:25], v[68:69], v[24:25]
	v_mul_f64 v[68:69], v[128:129], s[36:37]
	v_add_f64 v[72:73], v[76:77], v[72:73]
	v_fma_f64 v[76:77], v[122:123], s[30:31], -v[68:69]
	v_fmac_f64_e32 v[68:69], s[30:31], v[122:123]
	v_add_f64 v[28:29], v[68:69], v[28:29]
	v_mul_f64 v[68:69], v[128:129], s[44:45]
	s_mov_b32 s36, 0x2a9d6da3
	v_add_f64 v[32:33], v[76:77], v[32:33]
	v_fma_f64 v[76:77], v[122:123], s[12:13], -v[68:69]
	v_fmac_f64_e32 v[68:69], s[12:13], v[122:123]
	s_mov_b32 s37, 0x3fe58eea
	s_mov_b32 s38, 0x75d4884
	v_add_f64 v[36:37], v[68:69], v[36:37]
	v_mul_f64 v[68:69], v[128:129], s[36:37]
	s_mov_b32 s39, 0x3fe7a5f6
	v_add_f64 v[40:41], v[76:77], v[40:41]
	v_fma_f64 v[76:77], v[122:123], s[38:39], -v[68:69]
	v_fmac_f64_e32 v[68:69], s[38:39], v[122:123]
	s_mov_b32 s43, 0xbfd71e95
	s_mov_b32 s42, s46
	v_add_f64 v[44:45], v[68:69], v[44:45]
	v_mul_f64 v[68:69], v[128:129], s[42:43]
	v_add_f64 v[48:49], v[76:77], v[48:49]
	v_fma_f64 v[76:77], v[122:123], s[40:41], -v[68:69]
	v_fmac_f64_e32 v[68:69], s[40:41], v[122:123]
	v_add_f64 v[52:53], v[68:69], v[52:53]
	v_mul_f64 v[68:69], v[128:129], s[18:19]
	v_add_f64 v[56:57], v[76:77], v[56:57]
	v_fma_f64 v[76:77], v[122:123], s[0:1], -v[68:69]
	v_fmac_f64_e32 v[68:69], s[0:1], v[122:123]
	;; [unrolled: 5-line block ×3, first 2 shown]
	v_add_f64 v[12:13], v[68:69], v[12:13]
	v_add_f64 v[68:69], v[180:181], -v[130:131]
	v_add_f64 v[20:21], v[68:69], v[20:21]
	v_add_f64 v[68:69], v[182:183], -v[132:133]
	v_add_f64 v[24:25], v[68:69], v[24:25]
	v_mul_f64 v[68:69], v[116:117], s[44:45]
	v_add_f64 v[72:73], v[76:77], v[72:73]
	v_fma_f64 v[76:77], v[114:115], s[12:13], -v[68:69]
	v_fmac_f64_e32 v[68:69], s[12:13], v[114:115]
	v_add_f64 v[28:29], v[68:69], v[28:29]
	v_mul_f64 v[68:69], v[116:117], s[46:47]
	v_add_f64 v[32:33], v[76:77], v[32:33]
	v_fma_f64 v[76:77], v[114:115], s[40:41], -v[68:69]
	v_fmac_f64_e32 v[68:69], s[40:41], v[114:115]
	;; [unrolled: 5-line block ×4, first 2 shown]
	s_mov_b32 s45, 0x3fe9895b
	s_mov_b32 s44, s14
	v_add_f64 v[52:53], v[68:69], v[52:53]
	v_mul_f64 v[68:69], v[116:117], s[44:45]
	v_add_f64 v[56:57], v[76:77], v[56:57]
	v_fma_f64 v[76:77], v[114:115], s[16:17], -v[68:69]
	v_fmac_f64_e32 v[68:69], s[16:17], v[114:115]
	v_add_f64 v[60:61], v[68:69], v[60:61]
	v_mul_f64 v[68:69], v[116:117], s[36:37]
	v_add_f64 v[64:65], v[76:77], v[64:65]
	v_fma_f64 v[76:77], v[114:115], s[38:39], -v[68:69]
	v_fmac_f64_e32 v[68:69], s[38:39], v[114:115]
	v_mul_f64 v[134:135], v[74:75], s[24:25]
	v_add_f64 v[12:13], v[68:69], v[12:13]
	v_add_f64 v[68:69], v[136:137], -v[118:119]
	v_add_f64 v[20:21], v[68:69], v[20:21]
	v_add_f64 v[68:69], v[134:135], -v[120:121]
	v_add_f64 v[24:25], v[68:69], v[24:25]
	v_mul_f64 v[68:69], v[104:105], s[36:37]
	v_add_f64 v[72:73], v[76:77], v[72:73]
	v_fma_f64 v[76:77], v[74:75], s[38:39], -v[68:69]
	v_fmac_f64_e32 v[68:69], s[38:39], v[74:75]
	v_add_f64 v[28:29], v[68:69], v[28:29]
	v_mul_f64 v[68:69], v[104:105], s[34:35]
	v_add_f64 v[32:33], v[76:77], v[32:33]
	v_fma_f64 v[76:77], v[74:75], s[2:3], -v[68:69]
	v_fmac_f64_e32 v[68:69], s[2:3], v[74:75]
	;; [unrolled: 5-line block ×3, first 2 shown]
	s_mov_b32 s35, 0x3fefdd0d
	s_mov_b32 s34, s18
	v_add_f64 v[44:45], v[68:69], v[44:45]
	v_mul_f64 v[68:69], v[104:105], s[34:35]
	v_add_f64 v[48:49], v[76:77], v[48:49]
	v_fma_f64 v[76:77], v[74:75], s[0:1], -v[68:69]
	v_fmac_f64_e32 v[68:69], s[0:1], v[74:75]
	v_add_f64 v[52:53], v[68:69], v[52:53]
	v_mul_f64 v[68:69], v[104:105], s[42:43]
	v_add_f64 v[56:57], v[76:77], v[56:57]
	v_fma_f64 v[76:77], v[74:75], s[40:41], -v[68:69]
	v_fmac_f64_e32 v[68:69], s[40:41], v[74:75]
	v_add_f64 v[60:61], v[68:69], v[60:61]
	v_mul_f64 v[68:69], v[104:105], s[14:15]
	v_mul_f64 v[126:127], v[58:59], s[16:17]
	v_add_f64 v[64:65], v[76:77], v[64:65]
	v_fma_f64 v[76:77], v[74:75], s[16:17], -v[68:69]
	v_fmac_f64_e32 v[68:69], s[16:17], v[74:75]
	v_add_f64 v[12:13], v[68:69], v[12:13]
	v_add_f64 v[68:69], v[126:127], -v[106:107]
	v_add_f64 v[20:21], v[68:69], v[20:21]
	v_add_f64 v[68:69], v[124:125], -v[108:109]
	v_add_f64 v[24:25], v[68:69], v[24:25]
	v_mul_f64 v[68:69], v[54:55], s[42:43]
	v_fma_f64 v[74:75], v[58:59], s[40:41], -v[68:69]
	v_fmac_f64_e32 v[68:69], s[40:41], v[58:59]
	v_add_f64 v[28:29], v[68:69], v[28:29]
	v_mul_f64 v[68:69], v[54:55], s[20:21]
	v_add_f64 v[32:33], v[74:75], v[32:33]
	v_fma_f64 v[74:75], v[58:59], s[24:25], -v[68:69]
	v_fmac_f64_e32 v[68:69], s[24:25], v[58:59]
	v_add_f64 v[36:37], v[68:69], v[36:37]
	v_mul_f64 v[68:69], v[54:55], s[34:35]
	v_add_f64 v[40:41], v[74:75], v[40:41]
	v_fma_f64 v[74:75], v[58:59], s[0:1], -v[68:69]
	v_fmac_f64_e32 v[68:69], s[0:1], v[58:59]
	s_mov_b32 s47, 0xbfe58eea
	s_mov_b32 s46, s36
	v_add_f64 v[44:45], v[68:69], v[44:45]
	v_mul_f64 v[68:69], v[54:55], s[46:47]
	v_mul_f64 v[112:113], v[34:35], s[24:25]
	v_add_f64 v[48:49], v[74:75], v[48:49]
	v_fma_f64 v[74:75], v[58:59], s[38:39], -v[68:69]
	v_fmac_f64_e32 v[68:69], s[38:39], v[58:59]
	v_add_f64 v[52:53], v[68:69], v[52:53]
	v_mul_f64 v[68:69], v[54:55], s[28:29]
	v_add_f64 v[50:51], v[112:113], -v[50:51]
	v_add_f64 v[56:57], v[74:75], v[56:57]
	v_fma_f64 v[74:75], v[58:59], s[30:31], -v[68:69]
	v_fmac_f64_e32 v[68:69], s[30:31], v[58:59]
	v_mul_f64 v[54:55], v[54:55], s[26:27]
	v_add_f64 v[20:21], v[50:51], v[20:21]
	v_add_f64 v[50:51], v[110:111], -v[62:63]
	v_add_f64 v[60:61], v[68:69], v[60:61]
	v_fma_f64 v[68:69], v[58:59], s[2:3], -v[54:55]
	v_fmac_f64_e32 v[54:55], s[2:3], v[58:59]
	v_add_f64 v[24:25], v[50:51], v[24:25]
	v_mul_f64 v[50:51], v[38:39], s[18:19]
	v_add_f64 v[12:13], v[54:55], v[12:13]
	v_fma_f64 v[54:55], v[34:35], s[0:1], -v[50:51]
	v_fmac_f64_e32 v[50:51], s[0:1], v[34:35]
	v_add_f64 v[28:29], v[50:51], v[28:29]
	v_mul_f64 v[50:51], v[38:39], s[44:45]
	;; [unrolled: 5-line block ×5, first 2 shown]
	v_mul_f64 v[38:39], v[38:39], s[4:5]
	v_add_f64 v[54:55], v[54:55], v[56:57]
	v_fma_f64 v[56:57], v[34:35], s[38:39], -v[52:53]
	v_fmac_f64_e32 v[52:53], s[38:39], v[34:35]
	v_fma_f64 v[58:59], v[34:35], s[12:13], -v[38:39]
	v_fmac_f64_e32 v[38:39], s[12:13], v[34:35]
	v_add_f64 v[34:35], v[70:71], -v[46:47]
	v_add_f64 v[20:21], v[34:35], v[20:21]
	v_add_f64 v[34:35], v[66:67], -v[42:43]
	v_add_f64 v[24:25], v[34:35], v[24:25]
	v_mul_f64 v[34:35], v[30:31], s[20:21]
	v_add_f64 v[12:13], v[38:39], v[12:13]
	v_fma_f64 v[38:39], v[14:15], s[24:25], -v[34:35]
	v_fmac_f64_e32 v[34:35], s[24:25], v[14:15]
	v_add_f64 v[28:29], v[34:35], v[28:29]
	v_mul_f64 v[34:35], v[30:31], s[36:37]
	v_add_f64 v[32:33], v[38:39], v[32:33]
	v_fma_f64 v[38:39], v[14:15], s[38:39], -v[34:35]
	v_fmac_f64_e32 v[34:35], s[38:39], v[14:15]
	v_add_f64 v[34:35], v[34:35], v[36:37]
	v_mul_f64 v[36:37], v[30:31], s[14:15]
	v_add_f64 v[72:73], v[76:77], v[72:73]
	v_add_f64 v[38:39], v[38:39], v[40:41]
	v_fma_f64 v[40:41], v[14:15], s[16:17], -v[36:37]
	v_fmac_f64_e32 v[36:37], s[16:17], v[14:15]
	v_mul_f64 v[42:43], v[30:31], s[26:27]
	v_add_f64 v[64:65], v[74:75], v[64:65]
	v_add_f64 v[68:69], v[68:69], v[72:73]
	;; [unrolled: 1-line block ×3, first 2 shown]
	v_fma_f64 v[44:45], v[14:15], s[2:3], -v[42:43]
	v_fmac_f64_e32 v[42:43], s[2:3], v[14:15]
	v_mul_f64 v[46:47], v[30:31], s[4:5]
	v_mul_f64 v[30:31], v[30:31], s[34:35]
	v_add_f64 v[56:57], v[56:57], v[64:65]
	v_add_f64 v[52:53], v[52:53], v[60:61]
	;; [unrolled: 1-line block ×5, first 2 shown]
	v_fma_f64 v[48:49], v[14:15], s[12:13], -v[46:47]
	v_fmac_f64_e32 v[46:47], s[12:13], v[14:15]
	v_fma_f64 v[50:51], v[14:15], s[0:1], -v[30:31]
	v_fmac_f64_e32 v[30:31], s[0:1], v[14:15]
	v_lshl_add_u32 v14, v100, 7, v101
	v_add_f64 v[44:45], v[44:45], v[54:55]
	v_add_f64 v[48:49], v[48:49], v[56:57]
	;; [unrolled: 1-line block ×5, first 2 shown]
	ds_write2_b64 v14, v[16:17], v[20:21] offset1:1
	ds_write2_b64 v14, v[24:25], v[32:33] offset0:2 offset1:3
	ds_write2_b64 v14, v[38:39], v[40:41] offset0:4 offset1:5
	;; [unrolled: 1-line block ×7, first 2 shown]
	ds_write_b64 v14, v[6:7] offset:128
.LBB0_15:
	s_or_b64 exec, exec, s[22:23]
	s_movk_i32 s0, 0xf1
	v_mul_lo_u16_sdwa v13, v100, s0 dst_sel:DWORD dst_unused:UNUSED_PAD src0_sel:BYTE_0 src1_sel:DWORD
	v_lshrrev_b16_e32 v111, 12, v13
	v_mul_lo_u16_e32 v13, 17, v111
	v_sub_u16_e32 v144, v100, v13
	v_mov_b32_e32 v13, 5
	v_add_u32_e32 v110, 0x66, v100
	v_lshlrev_b32_sdwa v14, v13, v144 dst_sel:DWORD dst_unused:UNUSED_PAD src0_sel:DWORD src1_sel:BYTE_0
	s_load_dwordx2 s[4:5], s[10:11], 0x0
	s_waitcnt lgkmcnt(0)
	s_barrier
	global_load_dwordx4 v[28:31], v14, s[8:9] offset:16
	global_load_dwordx4 v[32:35], v14, s[8:9]
	v_mul_lo_u16_sdwa v14, v110, s0 dst_sel:DWORD dst_unused:UNUSED_PAD src0_sel:BYTE_0 src1_sel:DWORD
	v_lshrrev_b16_e32 v145, 12, v14
	v_mul_lo_u16_e32 v14, 17, v145
	v_sub_u16_e32 v146, v110, v14
	v_lshlrev_b32_sdwa v13, v13, v146 dst_sel:DWORD dst_unused:UNUSED_PAD src0_sel:DWORD src1_sel:BYTE_0
	s_mov_b32 s0, 0xf0f1
	global_load_dwordx4 v[36:39], v13, s[8:9] offset:16
	global_load_dwordx4 v[40:43], v13, s[8:9]
	v_mul_u32_u24_sdwa v13, v160, s0 dst_sel:DWORD dst_unused:UNUSED_PAD src0_sel:WORD_0 src1_sel:DWORD
	v_lshrrev_b32_e32 v147, 20, v13
	v_mul_lo_u16_e32 v13, 17, v147
	v_sub_u16_e32 v148, v160, v13
	v_lshlrev_b32_e32 v13, 5, v148
	global_load_dwordx4 v[66:69], v13, s[8:9] offset:16
	global_load_dwordx4 v[74:77], v13, s[8:9]
	v_mul_u32_u24_sdwa v13, v166, s0 dst_sel:DWORD dst_unused:UNUSED_PAD src0_sel:WORD_0 src1_sel:DWORD
	v_lshrrev_b32_e32 v149, 20, v13
	v_mul_lo_u16_e32 v13, 17, v149
	v_sub_u16_e32 v150, v166, v13
	v_add_u32_e32 v12, 0x198, v100
	v_lshlrev_b32_e32 v13, 5, v150
	global_load_dwordx4 v[112:115], v13, s[8:9] offset:16
	global_load_dwordx4 v[116:119], v13, s[8:9]
	v_mul_u32_u24_sdwa v13, v12, s0 dst_sel:DWORD dst_unused:UNUSED_PAD src0_sel:WORD_0 src1_sel:DWORD
	v_lshrrev_b32_e32 v151, 20, v13
	v_mul_lo_u16_e32 v13, 17, v151
	v_sub_u16_e32 v152, v12, v13
	v_lshlrev_b32_e32 v12, 5, v152
	global_load_dwordx4 v[120:123], v12, s[8:9]
	global_load_dwordx4 v[124:127], v12, s[8:9] offset:16
	ds_read2_b64 v[46:49], v101 offset1:102
	ds_read2_b64 v[12:15], v163 offset0:152 offset1:254
	ds_read2_b64 v[128:131], v161 offset0:124 offset1:226
	;; [unrolled: 1-line block ×4, first 2 shown]
	ds_read_b64 v[16:17], v158
	ds_read2_b64 v[140:143], v165 offset0:48 offset1:150
	ds_read_b64 v[50:51], v159
	ds_read_b64 v[20:21], v101 offset:11424
	s_mov_b32 s2, 0xe8584caa
	s_mov_b32 s3, 0xbfebb67a
	s_mov_b32 s11, 0x3febb67a
	s_mov_b32 s10, s2
	s_waitcnt lgkmcnt(0)
	s_barrier
	s_mov_b32 s1, 0x5040100
	s_movk_i32 s0, 0x198
	s_waitcnt vmcnt(9)
	v_mul_f64 v[72:73], v[128:129], v[30:31]
	s_waitcnt vmcnt(8)
	v_mul_f64 v[70:71], v[14:15], v[34:35]
	v_mul_f64 v[24:25], v[10:11], v[34:35]
	v_fmac_f64_e32 v[70:71], v[10:11], v[32:33]
	v_fma_f64 v[106:107], v[14:15], v[32:33], -v[24:25]
	v_mul_f64 v[30:31], v[90:91], v[30:31]
	v_fmac_f64_e32 v[72:73], v[90:91], v[28:29]
	v_fma_f64 v[108:109], v[128:129], v[28:29], -v[30:31]
	s_waitcnt vmcnt(6)
	v_mul_f64 v[62:63], v[132:133], v[42:43]
	v_mul_f64 v[34:35], v[82:83], v[42:43]
	v_fmac_f64_e32 v[62:63], v[82:83], v[40:41]
	v_mul_f64 v[64:65], v[130:131], v[38:39]
	v_mul_f64 v[38:39], v[92:93], v[38:39]
	v_fmac_f64_e32 v[64:65], v[92:93], v[36:37]
	s_waitcnt vmcnt(4)
	v_mul_f64 v[56:57], v[134:135], v[76:77]
	v_fma_f64 v[104:105], v[132:133], v[40:41], -v[34:35]
	v_fma_f64 v[92:93], v[130:131], v[36:37], -v[38:39]
	v_mul_f64 v[58:59], v[136:137], v[68:69]
	v_fmac_f64_e32 v[56:57], v[84:85], v[74:75]
	v_mul_f64 v[42:43], v[84:85], v[76:77]
	v_mul_f64 v[44:45], v[94:95], v[68:69]
	v_fmac_f64_e32 v[58:59], v[94:95], v[66:67]
	s_waitcnt vmcnt(2)
	v_mul_f64 v[52:53], v[140:141], v[118:119]
	v_fma_f64 v[84:85], v[134:135], v[74:75], -v[42:43]
	v_fma_f64 v[90:91], v[136:137], v[66:67], -v[44:45]
	v_mul_f64 v[54:55], v[138:139], v[114:115]
	s_waitcnt vmcnt(1)
	v_mul_f64 v[10:11], v[88:89], v[122:123]
	v_fma_f64 v[14:15], v[142:143], v[120:121], -v[10:11]
	s_waitcnt vmcnt(0)
	v_mul_f64 v[10:11], v[20:21], v[126:127]
	v_fmac_f64_e32 v[10:11], v[22:23], v[124:125]
	v_mul_f64 v[22:23], v[22:23], v[126:127]
	v_fma_f64 v[82:83], v[20:21], v[124:125], -v[22:23]
	v_add_f64 v[22:23], v[70:71], v[72:73]
	v_fma_f64 v[24:25], -0.5, v[22:23], v[78:79]
	v_add_f64 v[22:23], v[106:107], -v[108:109]
	v_fma_f64 v[28:29], s[2:3], v[22:23], v[24:25]
	v_fmac_f64_e32 v[24:25], s[10:11], v[22:23]
	v_add_f64 v[22:23], v[80:81], v[62:63]
	v_add_f64 v[30:31], v[22:23], v[64:65]
	;; [unrolled: 1-line block ×3, first 2 shown]
	v_fmac_f64_e32 v[80:81], -0.5, v[22:23]
	v_add_f64 v[22:23], v[104:105], -v[92:93]
	v_fma_f64 v[32:33], s[2:3], v[22:23], v[80:81]
	v_fmac_f64_e32 v[80:81], s[10:11], v[22:23]
	v_add_f64 v[22:23], v[26:27], v[56:57]
	v_add_f64 v[34:35], v[22:23], v[58:59]
	;; [unrolled: 1-line block ×3, first 2 shown]
	v_fmac_f64_e32 v[52:53], v[86:87], v[116:117]
	v_fmac_f64_e32 v[26:27], -0.5, v[22:23]
	v_add_f64 v[22:23], v[84:85], -v[90:91]
	v_mul_f64 v[68:69], v[86:87], v[118:119]
	v_mul_f64 v[76:77], v[96:97], v[114:115]
	v_fmac_f64_e32 v[54:55], v[96:97], v[112:113]
	v_fma_f64 v[36:37], s[2:3], v[22:23], v[26:27]
	v_fmac_f64_e32 v[26:27], s[10:11], v[22:23]
	v_add_f64 v[22:23], v[18:19], v[52:53]
	v_mul_f64 v[60:61], v[142:143], v[122:123]
	v_fma_f64 v[74:75], v[140:141], v[116:117], -v[68:69]
	v_fma_f64 v[76:77], v[138:139], v[112:113], -v[76:77]
	v_add_f64 v[38:39], v[22:23], v[54:55]
	v_add_f64 v[22:23], v[52:53], v[54:55]
	v_fmac_f64_e32 v[60:61], v[88:89], v[120:121]
	v_fmac_f64_e32 v[18:19], -0.5, v[22:23]
	v_add_f64 v[22:23], v[74:75], -v[76:77]
	v_fma_f64 v[40:41], s[2:3], v[22:23], v[18:19]
	v_fmac_f64_e32 v[18:19], s[10:11], v[22:23]
	v_add_f64 v[22:23], v[8:9], v[60:61]
	v_add_f64 v[66:67], v[22:23], v[10:11]
	;; [unrolled: 1-line block ×3, first 2 shown]
	v_fmac_f64_e32 v[8:9], -0.5, v[22:23]
	v_add_f64 v[42:43], v[14:15], -v[82:83]
	v_fma_f64 v[22:23], s[2:3], v[42:43], v[8:9]
	v_fmac_f64_e32 v[8:9], s[10:11], v[42:43]
	v_mov_b32_e32 v43, 3
	v_add_f64 v[20:21], v[78:79], v[70:71]
	v_mul_u32_u24_e32 v42, 0x198, v111
	v_lshlrev_b32_sdwa v44, v43, v144 dst_sel:DWORD dst_unused:UNUSED_PAD src0_sel:DWORD src1_sel:BYTE_0
	v_add_f64 v[20:21], v[20:21], v[72:73]
	v_add3_u32 v78, 0, v42, v44
	ds_write2_b64 v78, v[20:21], v[28:29] offset1:17
	ds_write_b64 v78, v[24:25] offset:272
	v_mul_u32_u24_e32 v20, 0x198, v145
	v_lshlrev_b32_sdwa v21, v43, v146 dst_sel:DWORD dst_unused:UNUSED_PAD src0_sel:DWORD src1_sel:BYTE_0
	v_add3_u32 v79, 0, v20, v21
	v_perm_b32 v20, v149, v147, s1
	v_pk_mul_lo_u16 v20, v20, s0 op_sel_hi:[1,0]
	v_lshlrev_b32_e32 v24, 3, v148
	v_and_b32_e32 v21, 0xfff8, v20
	ds_write2_b64 v79, v[30:31], v[32:33] offset1:17
	ds_write_b64 v79, v[80:81] offset:272
	v_add3_u32 v80, 0, v21, v24
	v_lshrrev_b32_e32 v20, 16, v20
	v_lshlrev_b32_e32 v21, 3, v150
	v_add3_u32 v81, 0, v20, v21
	ds_write2_b64 v80, v[34:35], v[36:37] offset1:17
	ds_write_b64 v80, v[26:27] offset:272
	ds_write2_b64 v81, v[38:39], v[40:41] offset1:17
	ds_write_b64 v81, v[18:19] offset:272
	v_mul_u32_u24_e32 v18, 0x198, v151
	v_lshlrev_b32_e32 v19, 3, v152
	v_add3_u32 v86, 0, v18, v19
	v_add_u32_e32 v87, 0x400, v101
	v_add_u32_e32 v88, 0xc00, v101
	;; [unrolled: 1-line block ×3, first 2 shown]
	ds_write2_b64 v86, v[66:67], v[22:23] offset1:17
	ds_write_b64 v86, v[8:9] offset:272
	s_waitcnt lgkmcnt(0)
	s_barrier
	ds_read2_b64 v[18:21], v101 offset1:102
	ds_read2_b64 v[34:37], v87 offset0:127 offset1:229
	ds_read2_b64 v[38:41], v88 offset0:126 offset1:228
	;; [unrolled: 1-line block ×5, first 2 shown]
	v_cmp_gt_u32_e64 s[0:1], 51, v100
                                        ; implicit-def: $vgpr68_vgpr69
	s_and_saveexec_b64 s[12:13], s[0:1]
	s_cbranch_execz .LBB0_17
; %bb.16:
	v_add_u32_e32 v0, 0xe58, v101
	ds_read2_b64 v[22:25], v0 offset1:255
	v_add_u32_e32 v0, 0x1e48, v101
	ds_read2_b64 v[0:3], v0 offset1:255
	ds_read_b64 v[66:67], v159
	ds_read_b64 v[68:69], v101 offset:11832
	s_waitcnt lgkmcnt(3)
	v_mov_b64_e32 v[8:9], v[24:25]
.LBB0_17:
	s_or_b64 exec, exec, s[12:13]
	v_add_f64 v[24:25], v[46:47], v[106:107]
	v_add_f64 v[94:95], v[24:25], v[108:109]
	;; [unrolled: 1-line block ×3, first 2 shown]
	v_fma_f64 v[46:47], -0.5, v[24:25], v[46:47]
	v_add_f64 v[24:25], v[70:71], -v[72:73]
	v_fma_f64 v[70:71], s[10:11], v[24:25], v[46:47]
	v_fmac_f64_e32 v[46:47], s[2:3], v[24:25]
	v_add_f64 v[24:25], v[48:49], v[104:105]
	v_add_f64 v[72:73], v[24:25], v[92:93]
	v_add_f64 v[24:25], v[104:105], v[92:93]
	v_fmac_f64_e32 v[48:49], -0.5, v[24:25]
	v_add_f64 v[24:25], v[62:63], -v[64:65]
	v_fma_f64 v[62:63], s[10:11], v[24:25], v[48:49]
	v_fmac_f64_e32 v[48:49], s[2:3], v[24:25]
	v_add_f64 v[24:25], v[50:51], v[84:85]
	v_add_f64 v[64:65], v[24:25], v[90:91]
	v_add_f64 v[24:25], v[84:85], v[90:91]
	v_fmac_f64_e32 v[50:51], -0.5, v[24:25]
	;; [unrolled: 7-line block ×3, first 2 shown]
	v_add_f64 v[24:25], v[52:53], -v[54:55]
	v_fma_f64 v[52:53], s[10:11], v[24:25], v[16:17]
	v_fmac_f64_e32 v[16:17], s[2:3], v[24:25]
	v_add_f64 v[24:25], v[12:13], v[14:15]
	v_add_f64 v[14:15], v[14:15], v[82:83]
	v_fmac_f64_e32 v[12:13], -0.5, v[14:15]
	v_add_f64 v[14:15], v[60:61], -v[10:11]
	v_add_f64 v[24:25], v[24:25], v[82:83]
	v_fma_f64 v[10:11], s[10:11], v[14:15], v[12:13]
	v_fmac_f64_e32 v[12:13], s[2:3], v[14:15]
	s_waitcnt lgkmcnt(0)
	s_barrier
	ds_write2_b64 v78, v[94:95], v[70:71] offset1:17
	ds_write_b64 v78, v[46:47] offset:272
	ds_write2_b64 v79, v[72:73], v[62:63] offset1:17
	ds_write_b64 v79, v[48:49] offset:272
	;; [unrolled: 2-line block ×5, first 2 shown]
	s_waitcnt lgkmcnt(0)
	s_barrier
	ds_read2_b64 v[14:17], v101 offset1:102
	ds_read2_b64 v[62:65], v87 offset0:127 offset1:229
	ds_read2_b64 v[58:61], v88 offset0:126 offset1:228
	;; [unrolled: 1-line block ×3, first 2 shown]
	v_add_u32_e32 v50, 0x1c00, v101
	v_add_u32_e32 v54, 0x2400, v101
	ds_read2_b64 v[50:53], v50 offset0:124 offset1:226
	ds_read2_b64 v[54:57], v54 offset0:123 offset1:225
                                        ; implicit-def: $vgpr70_vgpr71
	s_and_saveexec_b64 s[2:3], s[0:1]
	s_cbranch_execz .LBB0_19
; %bb.18:
	v_add_u32_e32 v4, 0xe58, v101
	ds_read2_b64 v[10:13], v4 offset1:255
	v_add_u32_e32 v4, 0x1e48, v101
	ds_read2_b64 v[4:7], v4 offset1:255
	ds_read_b64 v[24:25], v159
	ds_read_b64 v[70:71], v101 offset:11832
.LBB0_19:
	s_or_b64 exec, exec, s[2:3]
	v_subrev_u32_e32 v72, 51, v100
	v_cndmask_b32_e64 v111, v72, v100, s[0:1]
	v_mul_i32_i24_e32 v72, 5, v111
	v_mov_b32_e32 v73, 0
	v_lshl_add_u64 v[72:73], v[72:73], 4, s[8:9]
	s_movk_i32 s2, 0xa1
	global_load_dwordx4 v[78:81], v[72:73], off offset:544
	global_load_dwordx4 v[82:85], v[72:73], off offset:560
	;; [unrolled: 1-line block ×5, first 2 shown]
	v_mul_lo_u16_sdwa v73, v110, s2 dst_sel:DWORD dst_unused:UNUSED_PAD src0_sel:BYTE_0 src1_sel:DWORD
	s_mov_b32 s3, 0xa0a1
	v_lshrrev_b16_e32 v150, 13, v73
	v_mul_u32_u24_sdwa v74, v160, s3 dst_sel:DWORD dst_unused:UNUSED_PAD src0_sel:WORD_0 src1_sel:DWORD
	v_mul_lo_u16_e32 v73, 51, v150
	v_sub_u16_e32 v151, v110, v73
	v_lshrrev_b32_e32 v73, 21, v74
	v_mov_b32_e32 v72, 5
	v_mul_lo_u16_e32 v73, 51, v73
	v_mul_u32_u24_sdwa v72, v151, v72 dst_sel:DWORD dst_unused:UNUSED_PAD src0_sel:BYTE_0 src1_sel:DWORD
	v_sub_u16_e32 v152, v160, v73
	v_lshlrev_b32_e32 v72, 4, v72
	v_mul_u32_u24_e32 v73, 5, v152
	global_load_dwordx4 v[104:107], v72, s[8:9] offset:544
	global_load_dwordx4 v[112:115], v72, s[8:9] offset:576
	;; [unrolled: 1-line block ×5, first 2 shown]
	v_lshlrev_b32_e32 v72, 4, v73
	global_load_dwordx4 v[128:131], v72, s[8:9] offset:544
	global_load_dwordx4 v[132:135], v72, s[8:9] offset:560
	;; [unrolled: 1-line block ×5, first 2 shown]
	s_mov_b32 s12, 0xe8584caa
	s_mov_b32 s13, 0xbfebb67a
	;; [unrolled: 1-line block ×3, first 2 shown]
	v_cmp_lt_u32_e64 s[2:3], 50, v100
	s_waitcnt lgkmcnt(0)
	s_barrier
	s_waitcnt vmcnt(14)
	v_mul_f64 v[72:73], v[62:63], v[80:81]
	v_mul_f64 v[80:81], v[34:35], v[80:81]
	s_waitcnt vmcnt(13)
	v_mul_f64 v[74:75], v[58:59], v[84:85]
	v_mul_f64 v[84:85], v[38:39], v[84:85]
	;; [unrolled: 3-line block ×4, first 2 shown]
	v_fma_f64 v[62:63], v[62:63], v[78:79], -v[80:81]
	v_fma_f64 v[80:81], v[58:59], v[82:83], -v[84:85]
	v_fmac_f64_e32 v[108:109], v[42:43], v[86:87]
	v_fma_f64 v[58:59], v[46:47], v[86:87], -v[88:89]
	v_fmac_f64_e32 v[76:77], v[30:31], v[90:91]
	s_waitcnt vmcnt(10)
	v_mul_f64 v[148:149], v[54:55], v[96:97]
	v_fmac_f64_e32 v[74:75], v[38:39], v[82:83]
	v_mul_f64 v[96:97], v[26:27], v[96:97]
	s_waitcnt vmcnt(9)
	v_mul_f64 v[42:43], v[64:65], v[106:107]
	v_fmac_f64_e32 v[72:73], v[34:35], v[78:79]
	s_waitcnt vmcnt(7)
	v_mul_f64 v[46:47], v[60:61], v[118:119]
	v_mul_f64 v[38:39], v[40:41], v[118:119]
	s_waitcnt vmcnt(2)
	v_mul_f64 v[86:87], v[4:5], v[138:139]
	s_waitcnt vmcnt(1)
	v_mul_f64 v[30:31], v[6:7], v[142:143]
	v_mul_f64 v[118:119], v[0:1], v[138:139]
	v_fmac_f64_e32 v[86:87], v[0:1], v[136:137]
	v_fmac_f64_e32 v[30:31], v[2:3], v[140:141]
	v_mul_f64 v[0:1], v[2:3], v[142:143]
	s_waitcnt vmcnt(0)
	v_mul_f64 v[2:3], v[68:69], v[146:147]
	v_fmac_f64_e32 v[148:149], v[26:27], v[94:95]
	v_mul_f64 v[34:35], v[36:37], v[106:107]
	v_mul_f64 v[26:27], v[12:13], v[134:135]
	v_fmac_f64_e32 v[42:43], v[36:37], v[104:105]
	v_fma_f64 v[36:37], v[70:71], v[144:145], -v[2:3]
	v_add_f64 v[2:3], v[18:19], v[74:75]
	v_fma_f64 v[82:83], v[50:51], v[90:91], -v[92:93]
	v_fma_f64 v[78:79], v[54:55], v[94:95], -v[96:97]
	v_mul_f64 v[88:89], v[48:49], v[114:115]
	v_mul_f64 v[90:91], v[44:45], v[114:115]
	;; [unrolled: 1-line block ×5, first 2 shown]
	v_fmac_f64_e32 v[26:27], v[8:9], v[132:133]
	v_add_f64 v[8:9], v[2:3], v[76:77]
	v_add_f64 v[2:3], v[74:75], v[76:77]
	v_mul_f64 v[96:97], v[28:29], v[126:127]
	v_mul_f64 v[84:85], v[10:11], v[130:131]
	v_fmac_f64_e32 v[94:95], v[28:29], v[124:125]
	v_fma_f64 v[28:29], v[10:11], v[128:129], -v[106:107]
	v_fma_f64 v[10:11], -0.5, v[2:3], v[18:19]
	v_add_f64 v[2:3], v[80:81], -v[82:83]
	v_fma_f64 v[54:55], v[64:65], v[104:105], -v[34:35]
	v_fma_f64 v[34:35], v[12:13], v[132:133], -v[114:115]
	v_fma_f64 v[12:13], s[12:13], v[2:3], v[10:11]
	v_fmac_f64_e32 v[10:11], s[10:11], v[2:3]
	v_add_f64 v[2:3], v[72:73], v[108:109]
	v_mul_f64 v[50:51], v[52:53], v[122:123]
	v_add_f64 v[18:19], v[2:3], v[148:149]
	v_add_f64 v[2:3], v[108:109], v[148:149]
	v_mul_f64 v[92:93], v[32:33], v[122:123]
	v_fmac_f64_e32 v[50:51], v[32:33], v[120:121]
	v_fma_f64 v[32:33], v[4:5], v[136:137], -v[118:119]
	v_fmac_f64_e32 v[72:73], -0.5, v[2:3]
	v_add_f64 v[4:5], v[58:59], -v[78:79]
	v_fma_f64 v[2:3], s[12:13], v[4:5], v[72:73]
	v_fmac_f64_e32 v[72:73], s[10:11], v[4:5]
	v_add_f64 v[4:5], v[58:59], v[78:79]
	v_fmac_f64_e32 v[84:85], v[22:23], v[128:129]
	v_fma_f64 v[4:5], -0.5, v[4:5], v[62:63]
	v_add_f64 v[22:23], v[108:109], -v[148:149]
	v_fma_f64 v[60:61], v[60:61], v[116:117], -v[38:39]
	v_fma_f64 v[38:39], v[6:7], v[140:141], -v[0:1]
	v_fma_f64 v[6:7], s[10:11], v[22:23], v[4:5]
	v_fmac_f64_e32 v[46:47], v[40:41], v[116:117]
	v_fma_f64 v[40:41], v[48:49], v[112:113], -v[90:91]
	v_fma_f64 v[48:49], v[52:53], v[120:121], -v[92:93]
	v_mul_f64 v[52:53], v[6:7], s[12:13]
	v_fmac_f64_e32 v[4:5], s[12:13], v[22:23]
	v_add_f64 v[22:23], v[8:9], v[18:19]
	v_fmac_f64_e32 v[52:53], 0.5, v[2:3]
	v_add_f64 v[18:19], v[8:9], -v[18:19]
	v_add_f64 v[8:9], v[20:21], v[46:47]
	v_fmac_f64_e32 v[88:89], v[44:45], v[112:113]
	v_fma_f64 v[44:45], v[56:57], v[124:125], -v[96:97]
	v_add_f64 v[90:91], v[12:13], v[52:53]
	v_mul_f64 v[56:57], v[4:5], s[12:13]
	v_add_f64 v[96:97], v[12:13], -v[52:53]
	v_add_f64 v[52:53], v[8:9], v[50:51]
	v_add_f64 v[8:9], v[46:47], v[50:51]
	v_fmac_f64_e32 v[56:57], -0.5, v[72:73]
	v_fmac_f64_e32 v[20:21], -0.5, v[8:9]
	v_add_f64 v[8:9], v[60:61], -v[48:49]
	v_add_f64 v[92:93], v[10:11], v[56:57]
	v_add_f64 v[104:105], v[10:11], -v[56:57]
	v_fma_f64 v[56:57], s[12:13], v[8:9], v[20:21]
	v_fmac_f64_e32 v[20:21], s[10:11], v[8:9]
	v_add_f64 v[8:9], v[42:43], v[88:89]
	v_add_f64 v[64:65], v[8:9], v[94:95]
	;; [unrolled: 1-line block ×3, first 2 shown]
	v_fmac_f64_e32 v[42:43], -0.5, v[8:9]
	v_add_f64 v[10:11], v[40:41], -v[44:45]
	v_mul_f64 v[0:1], v[70:71], v[146:147]
	v_fma_f64 v[8:9], s[12:13], v[10:11], v[42:43]
	v_fmac_f64_e32 v[42:43], s[10:11], v[10:11]
	v_add_f64 v[10:11], v[40:41], v[44:45]
	v_fmac_f64_e32 v[0:1], v[68:69], v[144:145]
	v_fma_f64 v[10:11], -0.5, v[10:11], v[54:55]
	v_add_f64 v[68:69], v[88:89], -v[94:95]
	v_fma_f64 v[12:13], s[10:11], v[68:69], v[10:11]
	v_fmac_f64_e32 v[10:11], s[12:13], v[68:69]
	v_add_f64 v[94:95], v[52:53], v[64:65]
	v_mul_f64 v[68:69], v[12:13], s[12:13]
	v_add_f64 v[112:113], v[52:53], -v[64:65]
	v_add_f64 v[52:53], v[86:87], v[0:1]
	v_fmac_f64_e32 v[68:69], 0.5, v[8:9]
	v_mul_f64 v[70:71], v[10:11], s[12:13]
	v_fma_f64 v[52:53], -0.5, v[52:53], v[84:85]
	v_add_f64 v[64:65], v[32:33], -v[36:37]
	v_add_f64 v[106:107], v[56:57], v[68:69]
	v_fmac_f64_e32 v[70:71], -0.5, v[42:43]
	v_add_f64 v[114:115], v[56:57], -v[68:69]
	v_fma_f64 v[56:57], s[12:13], v[64:65], v[52:53]
	v_fmac_f64_e32 v[52:53], s[10:11], v[64:65]
	v_add_f64 v[64:65], v[32:33], v[36:37]
	v_add_f64 v[108:109], v[20:21], v[70:71]
	v_add_f64 v[20:21], v[20:21], -v[70:71]
	v_fma_f64 v[64:65], -0.5, v[64:65], v[28:29]
	v_add_f64 v[70:71], v[86:87], -v[0:1]
	v_fma_f64 v[68:69], s[10:11], v[70:71], v[64:65]
	v_fmac_f64_e32 v[64:65], s[12:13], v[70:71]
	v_mov_b32_e32 v70, 0x990
	v_cndmask_b32_e64 v70, 0, v70, s[2:3]
	v_lshlrev_b32_e32 v71, 3, v111
	v_add3_u32 v71, 0, v70, v71
	ds_write2_b64 v71, v[22:23], v[90:91] offset1:51
	ds_write2_b64 v71, v[92:93], v[18:19] offset0:102 offset1:153
	ds_write2_b64 v71, v[96:97], v[104:105] offset0:204 offset1:255
	v_mov_b32_e32 v19, 3
	v_mul_u32_u24_e32 v18, 0x990, v150
	v_lshlrev_b32_sdwa v19, v19, v151 dst_sel:DWORD dst_unused:UNUSED_PAD src0_sel:DWORD src1_sel:BYTE_0
	v_add3_u32 v88, 0, v18, v19
	v_lshl_add_u32 v70, v152, 3, 0
	ds_write2_b64 v88, v[94:95], v[106:107] offset1:51
	ds_write2_b64 v88, v[108:109], v[112:113] offset0:102 offset1:153
	ds_write2_b64 v88, v[114:115], v[20:21] offset0:204 offset1:255
	s_and_saveexec_b64 s[2:3], s[0:1]
	s_cbranch_execz .LBB0_21
; %bb.20:
	v_add_f64 v[20:21], v[26:27], v[30:31]
	v_add_f64 v[18:19], v[34:35], -v[38:39]
	v_fma_f64 v[20:21], -0.5, v[20:21], v[66:67]
	v_fma_f64 v[22:23], s[10:11], v[18:19], v[20:21]
	v_fmac_f64_e32 v[20:21], s[12:13], v[18:19]
	v_mul_f64 v[18:19], v[68:69], s[12:13]
	v_add_f64 v[66:67], v[66:67], v[26:27]
	v_add_f64 v[84:85], v[84:85], v[86:87]
	v_mul_f64 v[90:91], v[64:65], s[12:13]
	v_fmac_f64_e32 v[18:19], 0.5, v[56:57]
	v_add_f64 v[66:67], v[66:67], v[30:31]
	v_add_f64 v[0:1], v[84:85], v[0:1]
	v_fmac_f64_e32 v[90:91], -0.5, v[52:53]
	v_add_f64 v[94:95], v[20:21], -v[18:19]
	v_add_f64 v[84:85], v[66:67], -v[0:1]
	v_add_f64 v[18:19], v[20:21], v[18:19]
	v_add_f64 v[0:1], v[66:67], v[0:1]
	v_add_u32_e32 v20, 0x2000, v70
	v_add_f64 v[92:93], v[22:23], -v[90:91]
	v_add_f64 v[22:23], v[22:23], v[90:91]
	ds_write2_b64 v20, v[0:1], v[18:19] offset0:200 offset1:251
	v_add_u32_e32 v0, 0x2800, v70
	ds_write2_b64 v0, v[22:23], v[84:85] offset0:46 offset1:97
	ds_write2_b64 v0, v[94:95], v[92:93] offset0:148 offset1:199
.LBB0_21:
	s_or_b64 exec, exec, s[2:3]
	v_add_f64 v[18:19], v[80:81], v[82:83]
	v_mul_f64 v[6:7], v[6:7], 0.5
	v_add_f64 v[0:1], v[14:15], v[80:81]
	v_fma_f64 v[14:15], -0.5, v[18:19], v[14:15]
	v_add_f64 v[18:19], v[74:75], -v[76:77]
	v_fmac_f64_e32 v[6:7], s[10:11], v[2:3]
	v_mul_f64 v[2:3], v[4:5], -0.5
	v_fma_f64 v[20:21], s[10:11], v[18:19], v[14:15]
	v_fmac_f64_e32 v[14:15], s[12:13], v[18:19]
	v_add_f64 v[18:19], v[62:63], v[58:59]
	v_fmac_f64_e32 v[2:3], s[10:11], v[72:73]
	v_add_f64 v[0:1], v[0:1], v[82:83]
	v_add_f64 v[18:19], v[18:19], v[78:79]
	;; [unrolled: 1-line block ×3, first 2 shown]
	v_add_f64 v[76:77], v[14:15], -v[2:3]
	v_add_f64 v[2:3], v[60:61], v[48:49]
	v_add_f64 v[58:59], v[0:1], v[18:19]
	;; [unrolled: 1-line block ×3, first 2 shown]
	v_add_f64 v[72:73], v[0:1], -v[18:19]
	v_add_f64 v[74:75], v[20:21], -v[6:7]
	v_add_f64 v[0:1], v[16:17], v[60:61]
	v_fmac_f64_e32 v[16:17], -0.5, v[2:3]
	v_add_f64 v[2:3], v[46:47], -v[50:51]
	v_mul_f64 v[6:7], v[12:13], 0.5
	v_fma_f64 v[4:5], s[10:11], v[2:3], v[16:17]
	v_fmac_f64_e32 v[6:7], s[10:11], v[8:9]
	v_add_f64 v[50:51], v[4:5], v[6:7]
	v_mul_f64 v[8:9], v[10:11], -0.5
	v_add_f64 v[60:61], v[4:5], -v[6:7]
	v_add_u32_e32 v4, 0x1000, v101
	v_fmac_f64_e32 v[16:17], s[12:13], v[2:3]
	v_add_f64 v[2:3], v[54:55], v[40:41]
	v_fmac_f64_e32 v[8:9], s[10:11], v[42:43]
	s_waitcnt lgkmcnt(0)
	s_barrier
	ds_read2_b64 v[12:15], v4 offset0:100 offset1:202
	v_add_u32_e32 v4, 0x1800, v101
	v_add_f64 v[0:1], v[0:1], v[48:49]
	v_add_f64 v[2:3], v[2:3], v[44:45]
	;; [unrolled: 1-line block ×3, first 2 shown]
	v_add_f64 v[78:79], v[16:17], -v[8:9]
	ds_read2_b64 v[8:11], v4 offset0:48 offset1:150
	v_add_u32_e32 v4, 0x2400, v101
	v_add_u32_e32 v16, 0x800, v101
	;; [unrolled: 1-line block ×3, first 2 shown]
	v_add_f64 v[46:47], v[0:1], v[2:3]
	v_add_f64 v[54:55], v[0:1], -v[2:3]
	ds_read2_b64 v[0:3], v101 offset1:102
	ds_read2_b64 v[4:7], v4 offset0:72 offset1:174
	ds_read2_b64 v[16:19], v16 offset0:152 offset1:254
	;; [unrolled: 1-line block ×3, first 2 shown]
	ds_read_b64 v[44:45], v158
	ds_read_b64 v[48:49], v159
	ds_read_b64 v[40:41], v101 offset:11424
	s_waitcnt lgkmcnt(0)
	s_barrier
	ds_write2_b64 v71, v[58:59], v[62:63] offset1:51
	ds_write2_b64 v71, v[66:67], v[72:73] offset0:102 offset1:153
	ds_write2_b64 v71, v[74:75], v[76:77] offset0:204 offset1:255
	ds_write2_b64 v88, v[46:47], v[50:51] offset1:51
	ds_write2_b64 v88, v[42:43], v[54:55] offset0:102 offset1:153
	ds_write2_b64 v88, v[60:61], v[78:79] offset0:204 offset1:255
	s_and_saveexec_b64 s[2:3], s[0:1]
	s_cbranch_execz .LBB0_23
; %bb.22:
	v_add_f64 v[42:43], v[24:25], v[34:35]
	v_add_f64 v[34:35], v[34:35], v[38:39]
	s_mov_b32 s0, 0xe8584caa
	v_fmac_f64_e32 v[24:25], -0.5, v[34:35]
	v_add_f64 v[26:27], v[26:27], -v[30:31]
	s_mov_b32 s1, 0x3febb67a
	s_mov_b32 s11, 0xbfebb67a
	s_mov_b32 s10, s0
	v_fma_f64 v[30:31], s[0:1], v[26:27], v[24:25]
	v_fmac_f64_e32 v[24:25], s[10:11], v[26:27]
	v_add_f64 v[26:27], v[28:29], v[32:33]
	v_mul_f64 v[32:33], v[68:69], 0.5
	v_add_f64 v[42:43], v[42:43], v[38:39]
	v_add_f64 v[26:27], v[26:27], v[36:37]
	v_fmac_f64_e32 v[32:33], s[0:1], v[56:57]
	v_mul_f64 v[36:37], v[64:65], -0.5
	v_add_f64 v[28:29], v[42:43], v[26:27]
	v_add_f64 v[34:35], v[30:31], v[32:33]
	v_fmac_f64_e32 v[36:37], s[0:1], v[52:53]
	v_add_f64 v[30:31], v[30:31], -v[32:33]
	v_add_u32_e32 v32, 0x2000, v70
	v_add_f64 v[38:39], v[24:25], v[36:37]
	v_add_f64 v[26:27], v[42:43], -v[26:27]
	ds_write2_b64 v32, v[28:29], v[34:35] offset0:200 offset1:251
	v_add_u32_e32 v28, 0x2800, v70
	v_add_f64 v[24:25], v[24:25], -v[36:37]
	ds_write2_b64 v28, v[38:39], v[26:27] offset0:46 offset1:97
	ds_write2_b64 v28, v[30:31], v[24:25] offset0:148 offset1:199
.LBB0_23:
	s_or_b64 exec, exec, s[2:3]
	s_waitcnt lgkmcnt(0)
	s_barrier
	s_and_saveexec_b64 s[0:1], vcc
	s_cbranch_execz .LBB0_25
; %bb.24:
	v_lshlrev_b32_e32 v42, 2, v160
	v_mov_b32_e32 v43, 0
	v_lshl_add_u64 v[28:29], v[42:43], 4, s[8:9]
	s_mov_b64 s[14:15], 0x1210
	v_lshl_add_u64 v[46:47], v[28:29], 0, s[14:15]
	v_add_co_u32_e32 v50, vcc, 0x1000, v28
	global_load_dwordx4 v[24:27], v[46:47], off offset:32
	global_load_dwordx4 v[36:39], v[46:47], off offset:16
	v_addc_co_u32_e32 v51, vcc, 0, v29, vcc
	global_load_dwordx4 v[28:31], v[50:51], off offset:528
	global_load_dwordx4 v[32:35], v[46:47], off offset:48
	v_mul_lo_u32 v42, s5, v102
	v_mul_lo_u32 v54, s4, v103
	v_mad_u64_u32 v[46:47], s[0:1], s4, v102, 0
	v_add3_u32 v47, v47, v54, v42
	v_lshlrev_b32_e32 v42, 2, v110
	s_movk_i32 s16, 0x1000
	v_lshl_add_u64 v[66:67], v[42:43], 4, s[8:9]
	v_add_co_u32_e32 v84, vcc, s16, v66
	v_add_u32_e32 v55, 0x1800, v101
	v_add_u32_e32 v58, 0x800, v101
	;; [unrolled: 1-line block ×3, first 2 shown]
	v_addc_co_u32_e32 v85, vcc, 0, v67, vcc
	ds_read_b64 v[52:53], v101 offset:11424
	ds_read_b64 v[50:51], v159
	ds_read_b64 v[102:103], v158
	ds_read2_b64 v[54:57], v55 offset0:48 offset1:150
	ds_read2_b64 v[58:61], v58 offset0:152 offset1:254
	;; [unrolled: 1-line block ×3, first 2 shown]
	v_lshl_add_u64 v[82:83], v[66:67], 0, s[14:15]
	global_load_dwordx4 v[66:69], v[84:85], off offset:528
	global_load_dwordx4 v[70:73], v[82:83], off offset:48
	;; [unrolled: 1-line block ×4, first 2 shown]
	s_mov_b32 s0, 0x134454ff
	s_mov_b32 s1, 0x3fee6f0e
	;; [unrolled: 1-line block ×10, first 2 shown]
	v_lshlrev_b32_e32 v42, 2, v100
	s_waitcnt vmcnt(7)
	v_mul_f64 v[84:85], v[22:23], v[26:27]
	s_waitcnt vmcnt(6)
	v_mul_f64 v[82:83], v[8:9], v[38:39]
	s_waitcnt lgkmcnt(2)
	v_mul_f64 v[38:39], v[54:55], v[38:39]
	s_waitcnt lgkmcnt(0)
	v_mul_f64 v[86:87], v[64:65], v[26:27]
	v_fma_f64 v[26:27], v[54:55], v[36:37], -v[82:83]
	s_waitcnt vmcnt(5)
	v_mul_f64 v[54:55], v[18:19], v[30:31]
	s_waitcnt vmcnt(4)
	v_mul_f64 v[82:83], v[40:41], v[34:35]
	v_fmac_f64_e32 v[38:39], v[8:9], v[36:37]
	v_fmac_f64_e32 v[86:87], v[22:23], v[24:25]
	v_mul_f64 v[8:9], v[60:61], v[30:31]
	v_mul_f64 v[90:91], v[52:53], v[34:35]
	v_fma_f64 v[22:23], v[60:61], v[28:29], -v[54:55]
	v_fma_f64 v[30:31], v[52:53], v[32:33], -v[82:83]
	;; [unrolled: 1-line block ×3, first 2 shown]
	v_fmac_f64_e32 v[90:91], v[40:41], v[32:33]
	v_add_f64 v[32:33], v[22:23], v[30:31]
	v_add_f64 v[34:35], v[38:39], -v[86:87]
	v_fmac_f64_e32 v[8:9], v[18:19], v[28:29]
	v_add_f64 v[18:19], v[26:27], v[64:65]
	v_add_f64 v[24:25], v[26:27], -v[22:23]
	v_add_f64 v[28:29], v[64:65], -v[30:31]
	v_fma_f64 v[32:33], -0.5, v[32:33], v[50:51]
	v_add_f64 v[40:41], v[8:9], -v[90:91]
	v_fma_f64 v[36:37], -0.5, v[18:19], v[50:51]
	v_add_f64 v[18:19], v[24:25], v[28:29]
	v_fma_f64 v[28:29], s[0:1], v[34:35], v[32:33]
	v_fmac_f64_e32 v[32:33], s[10:11], v[34:35]
	v_fmac_f64_e32 v[28:29], s[2:3], v[40:41]
	;; [unrolled: 1-line block ×5, first 2 shown]
	v_add_f64 v[18:19], v[22:23], v[50:51]
	v_add_f64 v[52:53], v[22:23], -v[26:27]
	v_add_f64 v[54:55], v[30:31], -v[64:65]
	v_fma_f64 v[24:25], s[10:11], v[40:41], v[36:37]
	v_fmac_f64_e32 v[36:37], s[0:1], v[40:41]
	v_add_f64 v[18:19], v[26:27], v[18:19]
	v_add_f64 v[52:53], v[52:53], v[54:55]
	v_fmac_f64_e32 v[24:25], s[2:3], v[34:35]
	v_fmac_f64_e32 v[36:37], s[12:13], v[34:35]
	v_add_f64 v[18:19], v[64:65], v[18:19]
	v_add_f64 v[50:51], v[22:23], -v[30:31]
	v_add_f64 v[22:23], v[8:9], v[90:91]
	v_fmac_f64_e32 v[24:25], s[4:5], v[52:53]
	v_fmac_f64_e32 v[36:37], s[4:5], v[52:53]
	v_add_f64 v[40:41], v[30:31], v[18:19]
	v_fma_f64 v[30:31], -0.5, v[22:23], v[48:49]
	v_add_f64 v[52:53], v[26:27], -v[64:65]
	v_add_f64 v[18:19], v[38:39], -v[8:9]
	;; [unrolled: 1-line block ×3, first 2 shown]
	v_fma_f64 v[26:27], s[10:11], v[52:53], v[30:31]
	v_fmac_f64_e32 v[30:31], s[0:1], v[52:53]
	v_add_f64 v[18:19], v[18:19], v[34:35]
	v_fmac_f64_e32 v[26:27], s[12:13], v[50:51]
	v_fmac_f64_e32 v[30:31], s[2:3], v[50:51]
	;; [unrolled: 1-line block ×4, first 2 shown]
	v_add_f64 v[18:19], v[8:9], -v[38:39]
	v_add_f64 v[22:23], v[90:91], -v[86:87]
	v_add_f64 v[18:19], v[18:19], v[22:23]
	v_add_f64 v[22:23], v[38:39], v[86:87]
	v_fma_f64 v[34:35], -0.5, v[22:23], v[48:49]
	v_fma_f64 v[22:23], s[0:1], v[50:51], v[34:35]
	v_fmac_f64_e32 v[34:35], s[10:11], v[50:51]
	v_fmac_f64_e32 v[22:23], s[12:13], v[52:53]
	;; [unrolled: 1-line block ×5, first 2 shown]
	v_add_u32_e32 v18, 0x1000, v101
	v_add_f64 v[8:9], v[48:49], v[8:9]
	ds_read2_b64 v[48:51], v18 offset0:100 offset1:202
	v_lshl_add_u64 v[18:19], v[42:43], 4, s[8:9]
	v_add_f64 v[8:9], v[38:39], v[8:9]
	v_lshl_add_u64 v[60:61], v[18:19], 0, s[14:15]
	v_add_co_u32_e32 v18, vcc, s16, v18
	v_add_f64 v[8:9], v[8:9], v[86:87]
	s_nop 0
	v_addc_co_u32_e32 v19, vcc, 0, v19, vcc
	global_load_dwordx4 v[52:55], v[60:61], off offset:32
	global_load_dwordx4 v[82:85], v[60:61], off offset:16
	;; [unrolled: 1-line block ×3, first 2 shown]
	v_add_f64 v[38:39], v[8:9], v[90:91]
	global_load_dwordx4 v[90:93], v[60:61], off offset:48
	s_waitcnt vmcnt(4)
	v_mul_f64 v[8:9], v[14:15], v[80:81]
	s_waitcnt lgkmcnt(0)
	v_fma_f64 v[104:105], v[50:51], v[78:79], -v[8:9]
	v_mul_f64 v[8:9], v[16:17], v[68:69]
	v_fma_f64 v[106:107], v[58:59], v[66:67], -v[8:9]
	v_add_u32_e32 v8, 0x2400, v101
	ds_read2_b64 v[94:97], v8 offset0:72 offset1:174
	v_mul_f64 v[50:51], v[50:51], v[80:81]
	v_mul_f64 v[18:19], v[20:21], v[76:77]
	v_fmac_f64_e32 v[50:51], v[14:15], v[78:79]
	ds_read2_b64 v[78:81], v101 offset1:102
	v_fma_f64 v[108:109], v[62:63], v[74:75], -v[18:19]
	v_mul_f64 v[18:19], v[6:7], v[72:73]
	s_waitcnt lgkmcnt(1)
	v_fma_f64 v[110:111], v[96:97], v[70:71], -v[18:19]
	v_mul_f64 v[14:15], v[62:63], v[76:77]
	v_add_f64 v[8:9], v[104:105], -v[106:107]
	v_add_f64 v[18:19], v[108:109], -v[110:111]
	v_fmac_f64_e32 v[14:15], v[20:21], v[74:75]
	v_mul_f64 v[74:75], v[58:59], v[68:69]
	v_add_f64 v[60:61], v[8:9], v[18:19]
	v_add_f64 v[8:9], v[106:107], v[110:111]
	v_fmac_f64_e32 v[74:75], v[16:17], v[66:67]
	v_mul_f64 v[66:67], v[96:97], v[72:73]
	v_add_f64 v[20:21], v[50:51], -v[14:15]
	s_waitcnt lgkmcnt(0)
	v_fma_f64 v[8:9], -0.5, v[8:9], v[80:81]
	v_fmac_f64_e32 v[66:67], v[6:7], v[70:71]
	v_fma_f64 v[18:19], s[0:1], v[20:21], v[8:9]
	v_add_f64 v[6:7], v[74:75], -v[66:67]
	v_fmac_f64_e32 v[8:9], s[10:11], v[20:21]
	v_add_f64 v[16:17], v[106:107], -v[104:105]
	v_add_f64 v[58:59], v[110:111], -v[108:109]
	v_fmac_f64_e32 v[18:19], s[2:3], v[6:7]
	v_fmac_f64_e32 v[8:9], s[12:13], v[6:7]
	v_add_f64 v[16:17], v[16:17], v[58:59]
	v_add_f64 v[58:59], v[104:105], v[108:109]
	v_fmac_f64_e32 v[18:19], s[4:5], v[60:61]
	v_fmac_f64_e32 v[8:9], s[4:5], v[60:61]
	v_fma_f64 v[60:61], -0.5, v[58:59], v[80:81]
	v_fma_f64 v[64:65], s[10:11], v[6:7], v[60:61]
	v_fmac_f64_e32 v[60:61], s[0:1], v[6:7]
	v_add_f64 v[6:7], v[106:107], v[80:81]
	v_add_f64 v[6:7], v[104:105], v[6:7]
	v_fmac_f64_e32 v[64:65], s[2:3], v[20:21]
	v_fmac_f64_e32 v[60:61], s[12:13], v[20:21]
	v_add_f64 v[6:7], v[108:109], v[6:7]
	v_fmac_f64_e32 v[64:65], s[4:5], v[16:17]
	v_fmac_f64_e32 v[60:61], s[4:5], v[16:17]
	v_add_f64 v[68:69], v[110:111], v[6:7]
	v_add_f64 v[6:7], v[50:51], -v[74:75]
	v_add_f64 v[16:17], v[14:15], -v[66:67]
	v_add_f64 v[20:21], v[6:7], v[16:17]
	v_add_f64 v[6:7], v[74:75], v[66:67]
	v_fma_f64 v[6:7], -0.5, v[6:7], v[2:3]
	v_add_f64 v[72:73], v[104:105], -v[108:109]
	v_add_f64 v[70:71], v[106:107], -v[110:111]
	v_fma_f64 v[16:17], s[10:11], v[72:73], v[6:7]
	v_fmac_f64_e32 v[6:7], s[0:1], v[72:73]
	v_fmac_f64_e32 v[16:17], s[12:13], v[70:71]
	;; [unrolled: 1-line block ×5, first 2 shown]
	v_add_f64 v[20:21], v[74:75], -v[50:51]
	v_add_f64 v[58:59], v[66:67], -v[14:15]
	v_add_f64 v[20:21], v[20:21], v[58:59]
	v_add_f64 v[58:59], v[50:51], v[14:15]
	v_fma_f64 v[58:59], -0.5, v[58:59], v[2:3]
	v_add_f64 v[2:3], v[2:3], v[74:75]
	v_add_f64 v[2:3], v[50:51], v[2:3]
	v_fma_f64 v[62:63], s[0:1], v[70:71], v[58:59]
	v_fmac_f64_e32 v[58:59], s[10:11], v[70:71]
	v_add_f64 v[2:3], v[2:3], v[14:15]
	v_add_f64 v[66:67], v[2:3], v[66:67]
	v_fmac_f64_e32 v[62:63], s[12:13], v[72:73]
	v_fmac_f64_e32 v[58:59], s[2:3], v[72:73]
	;; [unrolled: 1-line block ×4, first 2 shown]
	s_waitcnt vmcnt(3)
	v_mul_f64 v[50:51], v[10:11], v[54:55]
	v_fma_f64 v[70:71], v[56:57], v[52:53], -v[50:51]
	s_waitcnt vmcnt(1)
	v_mul_f64 v[14:15], v[44:45], v[88:89]
	v_mul_f64 v[2:3], v[12:13], v[84:85]
	s_waitcnt vmcnt(0)
	v_mul_f64 v[50:51], v[4:5], v[92:93]
	v_fma_f64 v[14:15], v[102:103], v[86:87], -v[14:15]
	v_fma_f64 v[74:75], v[94:95], v[90:91], -v[50:51]
	v_mul_f64 v[76:77], v[48:49], v[84:85]
	v_mul_f64 v[56:57], v[56:57], v[54:55]
	;; [unrolled: 1-line block ×3, first 2 shown]
	v_fma_f64 v[2:3], v[48:49], v[82:83], -v[2:3]
	v_fmac_f64_e32 v[76:77], v[12:13], v[82:83]
	v_fmac_f64_e32 v[56:57], v[10:11], v[52:53]
	v_add_f64 v[12:13], v[14:15], v[74:75]
	v_fmac_f64_e32 v[80:81], v[44:45], v[86:87]
	v_mul_f64 v[44:45], v[94:95], v[92:93]
	v_add_f64 v[20:21], v[2:3], -v[14:15]
	v_add_f64 v[50:51], v[70:71], -v[74:75]
	;; [unrolled: 1-line block ×3, first 2 shown]
	v_fma_f64 v[12:13], -0.5, v[12:13], v[78:79]
	v_fmac_f64_e32 v[44:45], v[4:5], v[90:91]
	v_add_f64 v[20:21], v[20:21], v[50:51]
	v_fma_f64 v[50:51], s[0:1], v[10:11], v[12:13]
	v_add_f64 v[48:49], v[80:81], -v[44:45]
	v_fmac_f64_e32 v[12:13], s[10:11], v[10:11]
	v_fmac_f64_e32 v[50:51], s[2:3], v[48:49]
	;; [unrolled: 1-line block ×5, first 2 shown]
	v_add_f64 v[4:5], v[14:15], -v[2:3]
	v_add_f64 v[20:21], v[74:75], -v[70:71]
	v_add_f64 v[20:21], v[4:5], v[20:21]
	v_add_f64 v[4:5], v[2:3], v[70:71]
	v_fma_f64 v[4:5], -0.5, v[4:5], v[78:79]
	v_fma_f64 v[54:55], s[10:11], v[48:49], v[4:5]
	v_fmac_f64_e32 v[4:5], s[0:1], v[48:49]
	v_fmac_f64_e32 v[54:55], s[2:3], v[10:11]
	;; [unrolled: 1-line block ×3, first 2 shown]
	v_add_f64 v[10:11], v[14:15], v[78:79]
	v_add_f64 v[10:11], v[2:3], v[10:11]
	;; [unrolled: 1-line block ×3, first 2 shown]
	v_fmac_f64_e32 v[54:55], s[4:5], v[20:21]
	v_fmac_f64_e32 v[4:5], s[4:5], v[20:21]
	v_add_f64 v[72:73], v[74:75], v[10:11]
	v_add_f64 v[10:11], v[76:77], -v[80:81]
	v_add_f64 v[20:21], v[56:57], -v[44:45]
	v_add_f64 v[20:21], v[10:11], v[20:21]
	v_add_f64 v[10:11], v[80:81], v[44:45]
	v_fma_f64 v[10:11], -0.5, v[10:11], v[0:1]
	v_add_f64 v[70:71], v[2:3], -v[70:71]
	v_add_f64 v[14:15], v[14:15], -v[74:75]
	v_fma_f64 v[48:49], s[10:11], v[70:71], v[10:11]
	v_fmac_f64_e32 v[10:11], s[0:1], v[70:71]
	v_fmac_f64_e32 v[48:49], s[12:13], v[14:15]
	;; [unrolled: 1-line block ×5, first 2 shown]
	v_add_f64 v[2:3], v[80:81], -v[76:77]
	v_add_f64 v[20:21], v[44:45], -v[56:57]
	v_add_f64 v[20:21], v[2:3], v[20:21]
	v_add_f64 v[2:3], v[76:77], v[56:57]
	v_fma_f64 v[2:3], -0.5, v[2:3], v[0:1]
	v_add_f64 v[0:1], v[0:1], v[80:81]
	v_add_f64 v[0:1], v[76:77], v[0:1]
	v_fma_f64 v[52:53], s[0:1], v[14:15], v[2:3]
	v_fmac_f64_e32 v[2:3], s[10:11], v[14:15]
	v_add_f64 v[0:1], v[0:1], v[56:57]
	v_fmac_f64_e32 v[52:53], s[12:13], v[70:71]
	v_fmac_f64_e32 v[2:3], s[2:3], v[70:71]
	v_add_f64 v[70:71], v[0:1], v[44:45]
	v_lshl_add_u64 v[0:1], v[46:47], 4, s[6:7]
	v_mov_b32_e32 v101, v43
	v_lshl_add_u64 v[0:1], v[98:99], 4, v[0:1]
	v_lshl_add_u64 v[0:1], v[100:101], 4, v[0:1]
	v_add_co_u32_e32 v14, vcc, s16, v0
	v_fmac_f64_e32 v[2:3], s[4:5], v[20:21]
	s_nop 0
	v_addc_co_u32_e32 v15, vcc, 0, v1, vcc
	s_movk_i32 s0, 0x2000
	global_store_dwordx4 v[14:15], v[2:5], off offset:800
	s_movk_i32 s1, 0x4000
	v_fmac_f64_e32 v[52:53], s[4:5], v[20:21]
	v_add_co_u32_e32 v2, vcc, s0, v0
	s_movk_i32 s0, 0x3000
	s_nop 0
	v_addc_co_u32_e32 v3, vcc, 0, v1, vcc
	v_add_co_u32_e32 v4, vcc, s0, v0
	global_store_dwordx4 v[2:3], v[10:13], off offset:1600
	s_nop 0
	v_addc_co_u32_e32 v5, vcc, 0, v1, vcc
	v_add_co_u32_e32 v10, vcc, s1, v0
	s_movk_i32 s1, 0x5000
	s_nop 0
	v_addc_co_u32_e32 v11, vcc, 0, v1, vcc
	global_store_dwordx4 v[0:1], v[70:73], off
	global_store_dwordx4 v[4:5], v[48:51], off offset:2400
	global_store_dwordx4 v[10:11], v[52:55], off offset:3200
	;; [unrolled: 1-line block ×6, first 2 shown]
	v_add_co_u32_e32 v2, vcc, s1, v0
	s_mov_b32 s1, 0xd62b80d7
	s_nop 0
	v_addc_co_u32_e32 v3, vcc, 0, v1, vcc
	global_store_dwordx4 v[2:3], v[62:65], off offset:736
	v_add_u32_e32 v2, 0xcc, v100
	v_mul_hi_u32 v2, v2, s1
	v_lshrrev_b32_e32 v2, 8, v2
	v_mul_u32_u24_e32 v42, 0x4c8, v2
	v_lshl_add_u64 v[0:1], v[42:43], 4, v[0:1]
	v_add_co_u32_e32 v2, vcc, s16, v0
	global_store_dwordx4 v[0:1], v[38:41], off offset:3264
	s_nop 0
	v_addc_co_u32_e32 v3, vcc, 0, v1, vcc
	global_store_dwordx4 v[2:3], v[34:37], off offset:4064
	v_add_co_u32_e32 v2, vcc, s0, v0
	s_nop 1
	v_addc_co_u32_e32 v3, vcc, 0, v1, vcc
	global_store_dwordx4 v[2:3], v[30:33], off offset:768
	v_add_co_u32_e32 v2, vcc, 0x4000, v0
	s_nop 1
	v_addc_co_u32_e32 v3, vcc, 0, v1, vcc
	v_add_co_u32_e32 v0, vcc, 0x5000, v0
	global_store_dwordx4 v[2:3], v[26:29], off offset:1568
	s_nop 0
	v_addc_co_u32_e32 v1, vcc, 0, v1, vcc
	global_store_dwordx4 v[0:1], v[22:25], off offset:2368
.LBB0_25:
	s_endpgm
	.section	.rodata,"a",@progbits
	.p2align	6, 0x0
	.amdhsa_kernel fft_rtc_back_len1530_factors_17_3_6_5_wgs_102_tpt_102_halfLds_dp_op_CI_CI_unitstride_sbrr_dirReg
		.amdhsa_group_segment_fixed_size 0
		.amdhsa_private_segment_fixed_size 0
		.amdhsa_kernarg_size 104
		.amdhsa_user_sgpr_count 2
		.amdhsa_user_sgpr_dispatch_ptr 0
		.amdhsa_user_sgpr_queue_ptr 0
		.amdhsa_user_sgpr_kernarg_segment_ptr 1
		.amdhsa_user_sgpr_dispatch_id 0
		.amdhsa_user_sgpr_kernarg_preload_length 0
		.amdhsa_user_sgpr_kernarg_preload_offset 0
		.amdhsa_user_sgpr_private_segment_size 0
		.amdhsa_uses_dynamic_stack 0
		.amdhsa_enable_private_segment 0
		.amdhsa_system_sgpr_workgroup_id_x 1
		.amdhsa_system_sgpr_workgroup_id_y 0
		.amdhsa_system_sgpr_workgroup_id_z 0
		.amdhsa_system_sgpr_workgroup_info 0
		.amdhsa_system_vgpr_workitem_id 0
		.amdhsa_next_free_vgpr 184
		.amdhsa_next_free_sgpr 60
		.amdhsa_accum_offset 184
		.amdhsa_reserve_vcc 1
		.amdhsa_float_round_mode_32 0
		.amdhsa_float_round_mode_16_64 0
		.amdhsa_float_denorm_mode_32 3
		.amdhsa_float_denorm_mode_16_64 3
		.amdhsa_dx10_clamp 1
		.amdhsa_ieee_mode 1
		.amdhsa_fp16_overflow 0
		.amdhsa_tg_split 0
		.amdhsa_exception_fp_ieee_invalid_op 0
		.amdhsa_exception_fp_denorm_src 0
		.amdhsa_exception_fp_ieee_div_zero 0
		.amdhsa_exception_fp_ieee_overflow 0
		.amdhsa_exception_fp_ieee_underflow 0
		.amdhsa_exception_fp_ieee_inexact 0
		.amdhsa_exception_int_div_zero 0
	.end_amdhsa_kernel
	.text
.Lfunc_end0:
	.size	fft_rtc_back_len1530_factors_17_3_6_5_wgs_102_tpt_102_halfLds_dp_op_CI_CI_unitstride_sbrr_dirReg, .Lfunc_end0-fft_rtc_back_len1530_factors_17_3_6_5_wgs_102_tpt_102_halfLds_dp_op_CI_CI_unitstride_sbrr_dirReg
                                        ; -- End function
	.section	.AMDGPU.csdata,"",@progbits
; Kernel info:
; codeLenInByte = 14292
; NumSgprs: 66
; NumVgprs: 184
; NumAgprs: 0
; TotalNumVgprs: 184
; ScratchSize: 0
; MemoryBound: 1
; FloatMode: 240
; IeeeMode: 1
; LDSByteSize: 0 bytes/workgroup (compile time only)
; SGPRBlocks: 8
; VGPRBlocks: 22
; NumSGPRsForWavesPerEU: 66
; NumVGPRsForWavesPerEU: 184
; AccumOffset: 184
; Occupancy: 2
; WaveLimiterHint : 1
; COMPUTE_PGM_RSRC2:SCRATCH_EN: 0
; COMPUTE_PGM_RSRC2:USER_SGPR: 2
; COMPUTE_PGM_RSRC2:TRAP_HANDLER: 0
; COMPUTE_PGM_RSRC2:TGID_X_EN: 1
; COMPUTE_PGM_RSRC2:TGID_Y_EN: 0
; COMPUTE_PGM_RSRC2:TGID_Z_EN: 0
; COMPUTE_PGM_RSRC2:TIDIG_COMP_CNT: 0
; COMPUTE_PGM_RSRC3_GFX90A:ACCUM_OFFSET: 45
; COMPUTE_PGM_RSRC3_GFX90A:TG_SPLIT: 0
	.text
	.p2alignl 6, 3212836864
	.fill 256, 4, 3212836864
	.type	__hip_cuid_ad63c4719dce314a,@object ; @__hip_cuid_ad63c4719dce314a
	.section	.bss,"aw",@nobits
	.globl	__hip_cuid_ad63c4719dce314a
__hip_cuid_ad63c4719dce314a:
	.byte	0                               ; 0x0
	.size	__hip_cuid_ad63c4719dce314a, 1

	.ident	"AMD clang version 19.0.0git (https://github.com/RadeonOpenCompute/llvm-project roc-6.4.0 25133 c7fe45cf4b819c5991fe208aaa96edf142730f1d)"
	.section	".note.GNU-stack","",@progbits
	.addrsig
	.addrsig_sym __hip_cuid_ad63c4719dce314a
	.amdgpu_metadata
---
amdhsa.kernels:
  - .agpr_count:     0
    .args:
      - .actual_access:  read_only
        .address_space:  global
        .offset:         0
        .size:           8
        .value_kind:     global_buffer
      - .offset:         8
        .size:           8
        .value_kind:     by_value
      - .actual_access:  read_only
        .address_space:  global
        .offset:         16
        .size:           8
        .value_kind:     global_buffer
      - .actual_access:  read_only
        .address_space:  global
        .offset:         24
        .size:           8
        .value_kind:     global_buffer
      - .actual_access:  read_only
        .address_space:  global
        .offset:         32
        .size:           8
        .value_kind:     global_buffer
      - .offset:         40
        .size:           8
        .value_kind:     by_value
      - .actual_access:  read_only
        .address_space:  global
        .offset:         48
        .size:           8
        .value_kind:     global_buffer
      - .actual_access:  read_only
        .address_space:  global
        .offset:         56
        .size:           8
        .value_kind:     global_buffer
      - .offset:         64
        .size:           4
        .value_kind:     by_value
      - .actual_access:  read_only
        .address_space:  global
        .offset:         72
        .size:           8
        .value_kind:     global_buffer
      - .actual_access:  read_only
        .address_space:  global
        .offset:         80
        .size:           8
        .value_kind:     global_buffer
      - .actual_access:  read_only
        .address_space:  global
        .offset:         88
        .size:           8
        .value_kind:     global_buffer
      - .actual_access:  write_only
        .address_space:  global
        .offset:         96
        .size:           8
        .value_kind:     global_buffer
    .group_segment_fixed_size: 0
    .kernarg_segment_align: 8
    .kernarg_segment_size: 104
    .language:       OpenCL C
    .language_version:
      - 2
      - 0
    .max_flat_workgroup_size: 102
    .name:           fft_rtc_back_len1530_factors_17_3_6_5_wgs_102_tpt_102_halfLds_dp_op_CI_CI_unitstride_sbrr_dirReg
    .private_segment_fixed_size: 0
    .sgpr_count:     66
    .sgpr_spill_count: 0
    .symbol:         fft_rtc_back_len1530_factors_17_3_6_5_wgs_102_tpt_102_halfLds_dp_op_CI_CI_unitstride_sbrr_dirReg.kd
    .uniform_work_group_size: 1
    .uses_dynamic_stack: false
    .vgpr_count:     184
    .vgpr_spill_count: 0
    .wavefront_size: 64
amdhsa.target:   amdgcn-amd-amdhsa--gfx950
amdhsa.version:
  - 1
  - 2
...

	.end_amdgpu_metadata
